;; amdgpu-corpus repo=ROCm/rocThrust kind=compiled arch=gfx1250 opt=O3
	.amdgcn_target "amdgcn-amd-amdhsa--gfx1250"
	.amdhsa_code_object_version 6
	.section	.text._ZN6thrust23THRUST_200600_302600_NS11hip_rocprim14__parallel_for6kernelILj256ENS1_20__uninitialized_fill7functorINS0_10device_ptrIiEEiEEmLj1EEEvT0_T1_SA_,"axG",@progbits,_ZN6thrust23THRUST_200600_302600_NS11hip_rocprim14__parallel_for6kernelILj256ENS1_20__uninitialized_fill7functorINS0_10device_ptrIiEEiEEmLj1EEEvT0_T1_SA_,comdat
	.protected	_ZN6thrust23THRUST_200600_302600_NS11hip_rocprim14__parallel_for6kernelILj256ENS1_20__uninitialized_fill7functorINS0_10device_ptrIiEEiEEmLj1EEEvT0_T1_SA_ ; -- Begin function _ZN6thrust23THRUST_200600_302600_NS11hip_rocprim14__parallel_for6kernelILj256ENS1_20__uninitialized_fill7functorINS0_10device_ptrIiEEiEEmLj1EEEvT0_T1_SA_
	.globl	_ZN6thrust23THRUST_200600_302600_NS11hip_rocprim14__parallel_for6kernelILj256ENS1_20__uninitialized_fill7functorINS0_10device_ptrIiEEiEEmLj1EEEvT0_T1_SA_
	.p2align	8
	.type	_ZN6thrust23THRUST_200600_302600_NS11hip_rocprim14__parallel_for6kernelILj256ENS1_20__uninitialized_fill7functorINS0_10device_ptrIiEEiEEmLj1EEEvT0_T1_SA_,@function
_ZN6thrust23THRUST_200600_302600_NS11hip_rocprim14__parallel_for6kernelILj256ENS1_20__uninitialized_fill7functorINS0_10device_ptrIiEEiEEmLj1EEEvT0_T1_SA_: ; @_ZN6thrust23THRUST_200600_302600_NS11hip_rocprim14__parallel_for6kernelILj256ENS1_20__uninitialized_fill7functorINS0_10device_ptrIiEEiEEmLj1EEEvT0_T1_SA_
; %bb.0:
	s_load_b128 s[8:11], s[0:1], 0x10
	s_bfe_u32 s2, ttmp6, 0x4000c
	s_and_b32 s3, ttmp6, 15
	s_add_co_i32 s2, s2, 1
	s_getreg_b32 s4, hwreg(HW_REG_IB_STS2, 6, 4)
	s_mul_i32 s2, ttmp9, s2
	s_delay_alu instid0(SALU_CYCLE_1)
	s_add_co_i32 s3, s3, s2
	s_cmp_eq_u32 s4, 0
	s_load_b96 s[4:6], s[0:1], 0x0
	s_wait_xcnt 0x0
	s_cselect_b32 s0, ttmp9, s3
	s_mov_b32 s1, 0
	s_lshl_b32 s0, s0, 8
	s_wait_kmcnt 0x0
	s_add_nc_u64 s[0:1], s[10:11], s[0:1]
	s_delay_alu instid0(SALU_CYCLE_1) | instskip(NEXT) | instid1(SALU_CYCLE_1)
	s_sub_nc_u64 s[2:3], s[8:9], s[0:1]
	v_cmp_lt_u64_e64 s3, 0xff, s[2:3]
	s_and_b32 vcc_lo, exec_lo, s3
	s_mov_b32 s3, -1
	s_cbranch_vccz .LBB0_3
; %bb.1:
	s_and_not1_b32 vcc_lo, exec_lo, s3
	s_cbranch_vccz .LBB0_6
.LBB0_2:
	s_endpgm
.LBB0_3:
	v_cmp_gt_u32_e32 vcc_lo, s2, v0
	s_and_saveexec_b32 s2, vcc_lo
	s_cbranch_execz .LBB0_5
; %bb.4:
	v_mov_b32_e32 v1, s6
	s_lshl_b64 s[8:9], s[0:1], 2
	s_delay_alu instid0(SALU_CYCLE_1)
	s_add_nc_u64 s[8:9], s[4:5], s[8:9]
	flat_store_b32 v0, v1, s[8:9] scale_offset
.LBB0_5:
	s_wait_xcnt 0x0
	s_or_b32 exec_lo, exec_lo, s2
	s_cbranch_execnz .LBB0_2
.LBB0_6:
	v_mov_b32_e32 v1, s6
	s_lshl_b64 s[0:1], s[0:1], 2
	s_delay_alu instid0(SALU_CYCLE_1)
	s_add_nc_u64 s[0:1], s[4:5], s[0:1]
	flat_store_b32 v0, v1, s[0:1] scale_offset
	s_endpgm
	.section	.rodata,"a",@progbits
	.p2align	6, 0x0
	.amdhsa_kernel _ZN6thrust23THRUST_200600_302600_NS11hip_rocprim14__parallel_for6kernelILj256ENS1_20__uninitialized_fill7functorINS0_10device_ptrIiEEiEEmLj1EEEvT0_T1_SA_
		.amdhsa_group_segment_fixed_size 0
		.amdhsa_private_segment_fixed_size 0
		.amdhsa_kernarg_size 32
		.amdhsa_user_sgpr_count 2
		.amdhsa_user_sgpr_dispatch_ptr 0
		.amdhsa_user_sgpr_queue_ptr 0
		.amdhsa_user_sgpr_kernarg_segment_ptr 1
		.amdhsa_user_sgpr_dispatch_id 0
		.amdhsa_user_sgpr_kernarg_preload_length 0
		.amdhsa_user_sgpr_kernarg_preload_offset 0
		.amdhsa_user_sgpr_private_segment_size 0
		.amdhsa_wavefront_size32 1
		.amdhsa_uses_dynamic_stack 0
		.amdhsa_enable_private_segment 0
		.amdhsa_system_sgpr_workgroup_id_x 1
		.amdhsa_system_sgpr_workgroup_id_y 0
		.amdhsa_system_sgpr_workgroup_id_z 0
		.amdhsa_system_sgpr_workgroup_info 0
		.amdhsa_system_vgpr_workitem_id 0
		.amdhsa_next_free_vgpr 2
		.amdhsa_next_free_sgpr 12
		.amdhsa_named_barrier_count 0
		.amdhsa_reserve_vcc 1
		.amdhsa_float_round_mode_32 0
		.amdhsa_float_round_mode_16_64 0
		.amdhsa_float_denorm_mode_32 3
		.amdhsa_float_denorm_mode_16_64 3
		.amdhsa_fp16_overflow 0
		.amdhsa_memory_ordered 1
		.amdhsa_forward_progress 1
		.amdhsa_inst_pref_size 2
		.amdhsa_round_robin_scheduling 0
		.amdhsa_exception_fp_ieee_invalid_op 0
		.amdhsa_exception_fp_denorm_src 0
		.amdhsa_exception_fp_ieee_div_zero 0
		.amdhsa_exception_fp_ieee_overflow 0
		.amdhsa_exception_fp_ieee_underflow 0
		.amdhsa_exception_fp_ieee_inexact 0
		.amdhsa_exception_int_div_zero 0
	.end_amdhsa_kernel
	.section	.text._ZN6thrust23THRUST_200600_302600_NS11hip_rocprim14__parallel_for6kernelILj256ENS1_20__uninitialized_fill7functorINS0_10device_ptrIiEEiEEmLj1EEEvT0_T1_SA_,"axG",@progbits,_ZN6thrust23THRUST_200600_302600_NS11hip_rocprim14__parallel_for6kernelILj256ENS1_20__uninitialized_fill7functorINS0_10device_ptrIiEEiEEmLj1EEEvT0_T1_SA_,comdat
.Lfunc_end0:
	.size	_ZN6thrust23THRUST_200600_302600_NS11hip_rocprim14__parallel_for6kernelILj256ENS1_20__uninitialized_fill7functorINS0_10device_ptrIiEEiEEmLj1EEEvT0_T1_SA_, .Lfunc_end0-_ZN6thrust23THRUST_200600_302600_NS11hip_rocprim14__parallel_for6kernelILj256ENS1_20__uninitialized_fill7functorINS0_10device_ptrIiEEiEEmLj1EEEvT0_T1_SA_
                                        ; -- End function
	.set _ZN6thrust23THRUST_200600_302600_NS11hip_rocprim14__parallel_for6kernelILj256ENS1_20__uninitialized_fill7functorINS0_10device_ptrIiEEiEEmLj1EEEvT0_T1_SA_.num_vgpr, 2
	.set _ZN6thrust23THRUST_200600_302600_NS11hip_rocprim14__parallel_for6kernelILj256ENS1_20__uninitialized_fill7functorINS0_10device_ptrIiEEiEEmLj1EEEvT0_T1_SA_.num_agpr, 0
	.set _ZN6thrust23THRUST_200600_302600_NS11hip_rocprim14__parallel_for6kernelILj256ENS1_20__uninitialized_fill7functorINS0_10device_ptrIiEEiEEmLj1EEEvT0_T1_SA_.numbered_sgpr, 12
	.set _ZN6thrust23THRUST_200600_302600_NS11hip_rocprim14__parallel_for6kernelILj256ENS1_20__uninitialized_fill7functorINS0_10device_ptrIiEEiEEmLj1EEEvT0_T1_SA_.num_named_barrier, 0
	.set _ZN6thrust23THRUST_200600_302600_NS11hip_rocprim14__parallel_for6kernelILj256ENS1_20__uninitialized_fill7functorINS0_10device_ptrIiEEiEEmLj1EEEvT0_T1_SA_.private_seg_size, 0
	.set _ZN6thrust23THRUST_200600_302600_NS11hip_rocprim14__parallel_for6kernelILj256ENS1_20__uninitialized_fill7functorINS0_10device_ptrIiEEiEEmLj1EEEvT0_T1_SA_.uses_vcc, 1
	.set _ZN6thrust23THRUST_200600_302600_NS11hip_rocprim14__parallel_for6kernelILj256ENS1_20__uninitialized_fill7functorINS0_10device_ptrIiEEiEEmLj1EEEvT0_T1_SA_.uses_flat_scratch, 0
	.set _ZN6thrust23THRUST_200600_302600_NS11hip_rocprim14__parallel_for6kernelILj256ENS1_20__uninitialized_fill7functorINS0_10device_ptrIiEEiEEmLj1EEEvT0_T1_SA_.has_dyn_sized_stack, 0
	.set _ZN6thrust23THRUST_200600_302600_NS11hip_rocprim14__parallel_for6kernelILj256ENS1_20__uninitialized_fill7functorINS0_10device_ptrIiEEiEEmLj1EEEvT0_T1_SA_.has_recursion, 0
	.set _ZN6thrust23THRUST_200600_302600_NS11hip_rocprim14__parallel_for6kernelILj256ENS1_20__uninitialized_fill7functorINS0_10device_ptrIiEEiEEmLj1EEEvT0_T1_SA_.has_indirect_call, 0
	.section	.AMDGPU.csdata,"",@progbits
; Kernel info:
; codeLenInByte = 204
; TotalNumSgprs: 14
; NumVgprs: 2
; ScratchSize: 0
; MemoryBound: 0
; FloatMode: 240
; IeeeMode: 1
; LDSByteSize: 0 bytes/workgroup (compile time only)
; SGPRBlocks: 0
; VGPRBlocks: 0
; NumSGPRsForWavesPerEU: 14
; NumVGPRsForWavesPerEU: 2
; NamedBarCnt: 0
; Occupancy: 16
; WaveLimiterHint : 0
; COMPUTE_PGM_RSRC2:SCRATCH_EN: 0
; COMPUTE_PGM_RSRC2:USER_SGPR: 2
; COMPUTE_PGM_RSRC2:TRAP_HANDLER: 0
; COMPUTE_PGM_RSRC2:TGID_X_EN: 1
; COMPUTE_PGM_RSRC2:TGID_Y_EN: 0
; COMPUTE_PGM_RSRC2:TGID_Z_EN: 0
; COMPUTE_PGM_RSRC2:TIDIG_COMP_CNT: 0
	.section	.text._ZN7rocprim17ROCPRIM_400000_NS6detail17trampoline_kernelINS0_14default_configENS1_21merge_config_selectorIiNS0_10empty_typeEEEZNS1_10merge_implIS3_N6thrust23THRUST_200600_302600_NS6detail15normal_iteratorINS9_10device_ptrIKiEEEESF_NSB_INSC_IiEEEEPS5_SI_SI_NS9_4lessIiEEEE10hipError_tPvRmT0_T1_T2_T3_T4_T5_mmT6_P12ihipStream_tbEUlT_E_NS1_11comp_targetILNS1_3genE0ELNS1_11target_archE4294967295ELNS1_3gpuE0ELNS1_3repE0EEENS1_30default_config_static_selectorELNS0_4arch9wavefront6targetE0EEEvSP_,"axG",@progbits,_ZN7rocprim17ROCPRIM_400000_NS6detail17trampoline_kernelINS0_14default_configENS1_21merge_config_selectorIiNS0_10empty_typeEEEZNS1_10merge_implIS3_N6thrust23THRUST_200600_302600_NS6detail15normal_iteratorINS9_10device_ptrIKiEEEESF_NSB_INSC_IiEEEEPS5_SI_SI_NS9_4lessIiEEEE10hipError_tPvRmT0_T1_T2_T3_T4_T5_mmT6_P12ihipStream_tbEUlT_E_NS1_11comp_targetILNS1_3genE0ELNS1_11target_archE4294967295ELNS1_3gpuE0ELNS1_3repE0EEENS1_30default_config_static_selectorELNS0_4arch9wavefront6targetE0EEEvSP_,comdat
	.protected	_ZN7rocprim17ROCPRIM_400000_NS6detail17trampoline_kernelINS0_14default_configENS1_21merge_config_selectorIiNS0_10empty_typeEEEZNS1_10merge_implIS3_N6thrust23THRUST_200600_302600_NS6detail15normal_iteratorINS9_10device_ptrIKiEEEESF_NSB_INSC_IiEEEEPS5_SI_SI_NS9_4lessIiEEEE10hipError_tPvRmT0_T1_T2_T3_T4_T5_mmT6_P12ihipStream_tbEUlT_E_NS1_11comp_targetILNS1_3genE0ELNS1_11target_archE4294967295ELNS1_3gpuE0ELNS1_3repE0EEENS1_30default_config_static_selectorELNS0_4arch9wavefront6targetE0EEEvSP_ ; -- Begin function _ZN7rocprim17ROCPRIM_400000_NS6detail17trampoline_kernelINS0_14default_configENS1_21merge_config_selectorIiNS0_10empty_typeEEEZNS1_10merge_implIS3_N6thrust23THRUST_200600_302600_NS6detail15normal_iteratorINS9_10device_ptrIKiEEEESF_NSB_INSC_IiEEEEPS5_SI_SI_NS9_4lessIiEEEE10hipError_tPvRmT0_T1_T2_T3_T4_T5_mmT6_P12ihipStream_tbEUlT_E_NS1_11comp_targetILNS1_3genE0ELNS1_11target_archE4294967295ELNS1_3gpuE0ELNS1_3repE0EEENS1_30default_config_static_selectorELNS0_4arch9wavefront6targetE0EEEvSP_
	.globl	_ZN7rocprim17ROCPRIM_400000_NS6detail17trampoline_kernelINS0_14default_configENS1_21merge_config_selectorIiNS0_10empty_typeEEEZNS1_10merge_implIS3_N6thrust23THRUST_200600_302600_NS6detail15normal_iteratorINS9_10device_ptrIKiEEEESF_NSB_INSC_IiEEEEPS5_SI_SI_NS9_4lessIiEEEE10hipError_tPvRmT0_T1_T2_T3_T4_T5_mmT6_P12ihipStream_tbEUlT_E_NS1_11comp_targetILNS1_3genE0ELNS1_11target_archE4294967295ELNS1_3gpuE0ELNS1_3repE0EEENS1_30default_config_static_selectorELNS0_4arch9wavefront6targetE0EEEvSP_
	.p2align	8
	.type	_ZN7rocprim17ROCPRIM_400000_NS6detail17trampoline_kernelINS0_14default_configENS1_21merge_config_selectorIiNS0_10empty_typeEEEZNS1_10merge_implIS3_N6thrust23THRUST_200600_302600_NS6detail15normal_iteratorINS9_10device_ptrIKiEEEESF_NSB_INSC_IiEEEEPS5_SI_SI_NS9_4lessIiEEEE10hipError_tPvRmT0_T1_T2_T3_T4_T5_mmT6_P12ihipStream_tbEUlT_E_NS1_11comp_targetILNS1_3genE0ELNS1_11target_archE4294967295ELNS1_3gpuE0ELNS1_3repE0EEENS1_30default_config_static_selectorELNS0_4arch9wavefront6targetE0EEEvSP_,@function
_ZN7rocprim17ROCPRIM_400000_NS6detail17trampoline_kernelINS0_14default_configENS1_21merge_config_selectorIiNS0_10empty_typeEEEZNS1_10merge_implIS3_N6thrust23THRUST_200600_302600_NS6detail15normal_iteratorINS9_10device_ptrIKiEEEESF_NSB_INSC_IiEEEEPS5_SI_SI_NS9_4lessIiEEEE10hipError_tPvRmT0_T1_T2_T3_T4_T5_mmT6_P12ihipStream_tbEUlT_E_NS1_11comp_targetILNS1_3genE0ELNS1_11target_archE4294967295ELNS1_3gpuE0ELNS1_3repE0EEENS1_30default_config_static_selectorELNS0_4arch9wavefront6targetE0EEEvSP_: ; @_ZN7rocprim17ROCPRIM_400000_NS6detail17trampoline_kernelINS0_14default_configENS1_21merge_config_selectorIiNS0_10empty_typeEEEZNS1_10merge_implIS3_N6thrust23THRUST_200600_302600_NS6detail15normal_iteratorINS9_10device_ptrIKiEEEESF_NSB_INSC_IiEEEEPS5_SI_SI_NS9_4lessIiEEEE10hipError_tPvRmT0_T1_T2_T3_T4_T5_mmT6_P12ihipStream_tbEUlT_E_NS1_11comp_targetILNS1_3genE0ELNS1_11target_archE4294967295ELNS1_3gpuE0ELNS1_3repE0EEENS1_30default_config_static_selectorELNS0_4arch9wavefront6targetE0EEEvSP_
; %bb.0:
	s_clause 0x2
	s_load_b96 s[12:14], s[0:1], 0x20
	s_load_b32 s2, s[0:1], 0x3c
	s_load_b256 s[4:11], s[0:1], 0x0
	s_wait_xcnt 0x0
	s_bfe_u32 s0, ttmp6, 0x4000c
	s_getreg_b32 s15, hwreg(HW_REG_IB_STS2, 6, 4)
	s_add_co_i32 s0, s0, 1
	s_delay_alu instid0(SALU_CYCLE_1) | instskip(SKIP_3) | instid1(SALU_CYCLE_2)
	s_mul_i32 s0, ttmp9, s0
	s_wait_kmcnt 0x0
	s_cvt_f32_u32 s3, s14
	s_and_b32 s2, s2, 0xffff
	v_rcp_iflag_f32_e32 v1, s3
	s_and_b32 s3, ttmp6, 15
	s_delay_alu instid0(SALU_CYCLE_1) | instskip(SKIP_3) | instid1(TRANS32_DEP_1)
	s_add_co_i32 s3, s3, s0
	s_cmp_eq_u32 s15, 0
	s_cselect_b32 s3, ttmp9, s3
	v_nop
	v_readfirstlane_b32 s1, v1
	s_sub_co_i32 s16, 0, s14
	v_mad_u32 v6, s3, s2, v0
	s_mul_f32 s1, s1, 0x4f7ffffe
	s_delay_alu instid0(SALU_CYCLE_3) | instskip(SKIP_1) | instid1(SALU_CYCLE_1)
	s_cvt_u32_f32 s15, s1
	s_add_nc_u64 s[0:1], s[12:13], s[10:11]
	s_add_co_i32 s17, s14, s0
	s_delay_alu instid0(SALU_CYCLE_1) | instskip(SKIP_2) | instid1(SALU_CYCLE_1)
	s_mul_i32 s16, s16, s15
	s_add_co_i32 s17, s17, -1
	s_mul_hi_u32 s16, s15, s16
	s_add_co_i32 s15, s15, s16
	s_delay_alu instid0(SALU_CYCLE_1) | instskip(NEXT) | instid1(SALU_CYCLE_1)
	s_mul_hi_u32 s15, s17, s15
	s_mul_i32 s16, s15, s14
	s_add_co_i32 s3, s15, 1
	s_sub_co_i32 s2, s17, s16
	s_delay_alu instid0(SALU_CYCLE_1)
	s_sub_co_i32 s16, s2, s14
	s_cmp_ge_u32 s2, s14
	s_cselect_b32 s3, s3, s15
	s_cselect_b32 s2, s16, s2
	s_add_co_i32 s15, s3, 1
	s_cmp_ge_u32 s2, s14
	s_cselect_b32 s2, s15, s3
	s_delay_alu instid0(SALU_CYCLE_1)
	v_cmp_ge_u32_e32 vcc_lo, s2, v6
	s_and_saveexec_b32 s2, vcc_lo
	s_cbranch_execz .LBB1_6
; %bb.1:
	v_mul_lo_u32 v0, v6, s14
	v_mov_b32_e32 v1, 0
	s_delay_alu instid0(VALU_DEP_1) | instskip(SKIP_1) | instid1(VALU_DEP_1)
	v_min_u64 v[4:5], v[0:1], s[0:1]
	s_mov_b32 s0, exec_lo
	v_max_u64 v[0:1], v[4:5], s[12:13]
	v_min_u64 v[2:3], v[4:5], s[10:11]
	s_delay_alu instid0(VALU_DEP_2) | instskip(NEXT) | instid1(VALU_DEP_1)
	v_sub_nc_u64_e64 v[0:1], v[0:1], s[12:13]
	v_cmpx_lt_u64_e64 v[0:1], v[2:3]
	s_cbranch_execz .LBB1_5
; %bb.2:
	v_lshl_add_u64 v[4:5], v[4:5], 2, s[8:9]
	s_mov_b32 s1, 0
.LBB1_3:                                ; =>This Inner Loop Header: Depth=1
	v_add_nc_u64_e32 v[8:9], v[2:3], v[0:1]
	s_delay_alu instid0(VALU_DEP_1) | instskip(NEXT) | instid1(VALU_DEP_1)
	v_lshrrev_b64 v[8:9], 1, v[8:9]
	v_lshlrev_b64_e32 v[10:11], 2, v[8:9]
	s_delay_alu instid0(VALU_DEP_1) | instskip(NEXT) | instid1(VALU_DEP_2)
	v_xor_b32_e32 v13, -1, v11
	v_xor_b32_e32 v12, -4, v10
	v_add_nc_u64_e32 v[10:11], s[6:7], v[10:11]
	s_delay_alu instid0(VALU_DEP_2)
	v_add_nc_u64_e32 v[12:13], v[4:5], v[12:13]
	global_load_b32 v7, v[10:11], off
	global_load_b32 v14, v[12:13], off
	s_wait_xcnt 0x1
	v_add_nc_u64_e32 v[10:11], 1, v[8:9]
	s_wait_loadcnt 0x0
	v_cmp_lt_i32_e32 vcc_lo, v14, v7
	v_dual_cndmask_b32 v3, v3, v9 :: v_dual_cndmask_b32 v2, v2, v8
	s_delay_alu instid0(VALU_DEP_3) | instskip(NEXT) | instid1(VALU_DEP_1)
	v_dual_cndmask_b32 v1, v11, v1 :: v_dual_cndmask_b32 v0, v10, v0
	v_cmp_ge_u64_e32 vcc_lo, v[0:1], v[2:3]
	s_or_b32 s1, vcc_lo, s1
	s_delay_alu instid0(SALU_CYCLE_1)
	s_and_not1_b32 exec_lo, exec_lo, s1
	s_cbranch_execnz .LBB1_3
; %bb.4:
	s_or_b32 exec_lo, exec_lo, s1
.LBB1_5:
	s_delay_alu instid0(SALU_CYCLE_1)
	s_or_b32 exec_lo, exec_lo, s0
	global_store_b32 v6, v0, s[4:5] scale_offset
.LBB1_6:
	s_endpgm
	.section	.rodata,"a",@progbits
	.p2align	6, 0x0
	.amdhsa_kernel _ZN7rocprim17ROCPRIM_400000_NS6detail17trampoline_kernelINS0_14default_configENS1_21merge_config_selectorIiNS0_10empty_typeEEEZNS1_10merge_implIS3_N6thrust23THRUST_200600_302600_NS6detail15normal_iteratorINS9_10device_ptrIKiEEEESF_NSB_INSC_IiEEEEPS5_SI_SI_NS9_4lessIiEEEE10hipError_tPvRmT0_T1_T2_T3_T4_T5_mmT6_P12ihipStream_tbEUlT_E_NS1_11comp_targetILNS1_3genE0ELNS1_11target_archE4294967295ELNS1_3gpuE0ELNS1_3repE0EEENS1_30default_config_static_selectorELNS0_4arch9wavefront6targetE0EEEvSP_
		.amdhsa_group_segment_fixed_size 0
		.amdhsa_private_segment_fixed_size 0
		.amdhsa_kernarg_size 304
		.amdhsa_user_sgpr_count 2
		.amdhsa_user_sgpr_dispatch_ptr 0
		.amdhsa_user_sgpr_queue_ptr 0
		.amdhsa_user_sgpr_kernarg_segment_ptr 1
		.amdhsa_user_sgpr_dispatch_id 0
		.amdhsa_user_sgpr_kernarg_preload_length 0
		.amdhsa_user_sgpr_kernarg_preload_offset 0
		.amdhsa_user_sgpr_private_segment_size 0
		.amdhsa_wavefront_size32 1
		.amdhsa_uses_dynamic_stack 0
		.amdhsa_enable_private_segment 0
		.amdhsa_system_sgpr_workgroup_id_x 1
		.amdhsa_system_sgpr_workgroup_id_y 0
		.amdhsa_system_sgpr_workgroup_id_z 0
		.amdhsa_system_sgpr_workgroup_info 0
		.amdhsa_system_vgpr_workitem_id 0
		.amdhsa_next_free_vgpr 15
		.amdhsa_next_free_sgpr 18
		.amdhsa_named_barrier_count 0
		.amdhsa_reserve_vcc 1
		.amdhsa_float_round_mode_32 0
		.amdhsa_float_round_mode_16_64 0
		.amdhsa_float_denorm_mode_32 3
		.amdhsa_float_denorm_mode_16_64 3
		.amdhsa_fp16_overflow 0
		.amdhsa_memory_ordered 1
		.amdhsa_forward_progress 1
		.amdhsa_inst_pref_size 4
		.amdhsa_round_robin_scheduling 0
		.amdhsa_exception_fp_ieee_invalid_op 0
		.amdhsa_exception_fp_denorm_src 0
		.amdhsa_exception_fp_ieee_div_zero 0
		.amdhsa_exception_fp_ieee_overflow 0
		.amdhsa_exception_fp_ieee_underflow 0
		.amdhsa_exception_fp_ieee_inexact 0
		.amdhsa_exception_int_div_zero 0
	.end_amdhsa_kernel
	.section	.text._ZN7rocprim17ROCPRIM_400000_NS6detail17trampoline_kernelINS0_14default_configENS1_21merge_config_selectorIiNS0_10empty_typeEEEZNS1_10merge_implIS3_N6thrust23THRUST_200600_302600_NS6detail15normal_iteratorINS9_10device_ptrIKiEEEESF_NSB_INSC_IiEEEEPS5_SI_SI_NS9_4lessIiEEEE10hipError_tPvRmT0_T1_T2_T3_T4_T5_mmT6_P12ihipStream_tbEUlT_E_NS1_11comp_targetILNS1_3genE0ELNS1_11target_archE4294967295ELNS1_3gpuE0ELNS1_3repE0EEENS1_30default_config_static_selectorELNS0_4arch9wavefront6targetE0EEEvSP_,"axG",@progbits,_ZN7rocprim17ROCPRIM_400000_NS6detail17trampoline_kernelINS0_14default_configENS1_21merge_config_selectorIiNS0_10empty_typeEEEZNS1_10merge_implIS3_N6thrust23THRUST_200600_302600_NS6detail15normal_iteratorINS9_10device_ptrIKiEEEESF_NSB_INSC_IiEEEEPS5_SI_SI_NS9_4lessIiEEEE10hipError_tPvRmT0_T1_T2_T3_T4_T5_mmT6_P12ihipStream_tbEUlT_E_NS1_11comp_targetILNS1_3genE0ELNS1_11target_archE4294967295ELNS1_3gpuE0ELNS1_3repE0EEENS1_30default_config_static_selectorELNS0_4arch9wavefront6targetE0EEEvSP_,comdat
.Lfunc_end1:
	.size	_ZN7rocprim17ROCPRIM_400000_NS6detail17trampoline_kernelINS0_14default_configENS1_21merge_config_selectorIiNS0_10empty_typeEEEZNS1_10merge_implIS3_N6thrust23THRUST_200600_302600_NS6detail15normal_iteratorINS9_10device_ptrIKiEEEESF_NSB_INSC_IiEEEEPS5_SI_SI_NS9_4lessIiEEEE10hipError_tPvRmT0_T1_T2_T3_T4_T5_mmT6_P12ihipStream_tbEUlT_E_NS1_11comp_targetILNS1_3genE0ELNS1_11target_archE4294967295ELNS1_3gpuE0ELNS1_3repE0EEENS1_30default_config_static_selectorELNS0_4arch9wavefront6targetE0EEEvSP_, .Lfunc_end1-_ZN7rocprim17ROCPRIM_400000_NS6detail17trampoline_kernelINS0_14default_configENS1_21merge_config_selectorIiNS0_10empty_typeEEEZNS1_10merge_implIS3_N6thrust23THRUST_200600_302600_NS6detail15normal_iteratorINS9_10device_ptrIKiEEEESF_NSB_INSC_IiEEEEPS5_SI_SI_NS9_4lessIiEEEE10hipError_tPvRmT0_T1_T2_T3_T4_T5_mmT6_P12ihipStream_tbEUlT_E_NS1_11comp_targetILNS1_3genE0ELNS1_11target_archE4294967295ELNS1_3gpuE0ELNS1_3repE0EEENS1_30default_config_static_selectorELNS0_4arch9wavefront6targetE0EEEvSP_
                                        ; -- End function
	.set _ZN7rocprim17ROCPRIM_400000_NS6detail17trampoline_kernelINS0_14default_configENS1_21merge_config_selectorIiNS0_10empty_typeEEEZNS1_10merge_implIS3_N6thrust23THRUST_200600_302600_NS6detail15normal_iteratorINS9_10device_ptrIKiEEEESF_NSB_INSC_IiEEEEPS5_SI_SI_NS9_4lessIiEEEE10hipError_tPvRmT0_T1_T2_T3_T4_T5_mmT6_P12ihipStream_tbEUlT_E_NS1_11comp_targetILNS1_3genE0ELNS1_11target_archE4294967295ELNS1_3gpuE0ELNS1_3repE0EEENS1_30default_config_static_selectorELNS0_4arch9wavefront6targetE0EEEvSP_.num_vgpr, 15
	.set _ZN7rocprim17ROCPRIM_400000_NS6detail17trampoline_kernelINS0_14default_configENS1_21merge_config_selectorIiNS0_10empty_typeEEEZNS1_10merge_implIS3_N6thrust23THRUST_200600_302600_NS6detail15normal_iteratorINS9_10device_ptrIKiEEEESF_NSB_INSC_IiEEEEPS5_SI_SI_NS9_4lessIiEEEE10hipError_tPvRmT0_T1_T2_T3_T4_T5_mmT6_P12ihipStream_tbEUlT_E_NS1_11comp_targetILNS1_3genE0ELNS1_11target_archE4294967295ELNS1_3gpuE0ELNS1_3repE0EEENS1_30default_config_static_selectorELNS0_4arch9wavefront6targetE0EEEvSP_.num_agpr, 0
	.set _ZN7rocprim17ROCPRIM_400000_NS6detail17trampoline_kernelINS0_14default_configENS1_21merge_config_selectorIiNS0_10empty_typeEEEZNS1_10merge_implIS3_N6thrust23THRUST_200600_302600_NS6detail15normal_iteratorINS9_10device_ptrIKiEEEESF_NSB_INSC_IiEEEEPS5_SI_SI_NS9_4lessIiEEEE10hipError_tPvRmT0_T1_T2_T3_T4_T5_mmT6_P12ihipStream_tbEUlT_E_NS1_11comp_targetILNS1_3genE0ELNS1_11target_archE4294967295ELNS1_3gpuE0ELNS1_3repE0EEENS1_30default_config_static_selectorELNS0_4arch9wavefront6targetE0EEEvSP_.numbered_sgpr, 18
	.set _ZN7rocprim17ROCPRIM_400000_NS6detail17trampoline_kernelINS0_14default_configENS1_21merge_config_selectorIiNS0_10empty_typeEEEZNS1_10merge_implIS3_N6thrust23THRUST_200600_302600_NS6detail15normal_iteratorINS9_10device_ptrIKiEEEESF_NSB_INSC_IiEEEEPS5_SI_SI_NS9_4lessIiEEEE10hipError_tPvRmT0_T1_T2_T3_T4_T5_mmT6_P12ihipStream_tbEUlT_E_NS1_11comp_targetILNS1_3genE0ELNS1_11target_archE4294967295ELNS1_3gpuE0ELNS1_3repE0EEENS1_30default_config_static_selectorELNS0_4arch9wavefront6targetE0EEEvSP_.num_named_barrier, 0
	.set _ZN7rocprim17ROCPRIM_400000_NS6detail17trampoline_kernelINS0_14default_configENS1_21merge_config_selectorIiNS0_10empty_typeEEEZNS1_10merge_implIS3_N6thrust23THRUST_200600_302600_NS6detail15normal_iteratorINS9_10device_ptrIKiEEEESF_NSB_INSC_IiEEEEPS5_SI_SI_NS9_4lessIiEEEE10hipError_tPvRmT0_T1_T2_T3_T4_T5_mmT6_P12ihipStream_tbEUlT_E_NS1_11comp_targetILNS1_3genE0ELNS1_11target_archE4294967295ELNS1_3gpuE0ELNS1_3repE0EEENS1_30default_config_static_selectorELNS0_4arch9wavefront6targetE0EEEvSP_.private_seg_size, 0
	.set _ZN7rocprim17ROCPRIM_400000_NS6detail17trampoline_kernelINS0_14default_configENS1_21merge_config_selectorIiNS0_10empty_typeEEEZNS1_10merge_implIS3_N6thrust23THRUST_200600_302600_NS6detail15normal_iteratorINS9_10device_ptrIKiEEEESF_NSB_INSC_IiEEEEPS5_SI_SI_NS9_4lessIiEEEE10hipError_tPvRmT0_T1_T2_T3_T4_T5_mmT6_P12ihipStream_tbEUlT_E_NS1_11comp_targetILNS1_3genE0ELNS1_11target_archE4294967295ELNS1_3gpuE0ELNS1_3repE0EEENS1_30default_config_static_selectorELNS0_4arch9wavefront6targetE0EEEvSP_.uses_vcc, 1
	.set _ZN7rocprim17ROCPRIM_400000_NS6detail17trampoline_kernelINS0_14default_configENS1_21merge_config_selectorIiNS0_10empty_typeEEEZNS1_10merge_implIS3_N6thrust23THRUST_200600_302600_NS6detail15normal_iteratorINS9_10device_ptrIKiEEEESF_NSB_INSC_IiEEEEPS5_SI_SI_NS9_4lessIiEEEE10hipError_tPvRmT0_T1_T2_T3_T4_T5_mmT6_P12ihipStream_tbEUlT_E_NS1_11comp_targetILNS1_3genE0ELNS1_11target_archE4294967295ELNS1_3gpuE0ELNS1_3repE0EEENS1_30default_config_static_selectorELNS0_4arch9wavefront6targetE0EEEvSP_.uses_flat_scratch, 0
	.set _ZN7rocprim17ROCPRIM_400000_NS6detail17trampoline_kernelINS0_14default_configENS1_21merge_config_selectorIiNS0_10empty_typeEEEZNS1_10merge_implIS3_N6thrust23THRUST_200600_302600_NS6detail15normal_iteratorINS9_10device_ptrIKiEEEESF_NSB_INSC_IiEEEEPS5_SI_SI_NS9_4lessIiEEEE10hipError_tPvRmT0_T1_T2_T3_T4_T5_mmT6_P12ihipStream_tbEUlT_E_NS1_11comp_targetILNS1_3genE0ELNS1_11target_archE4294967295ELNS1_3gpuE0ELNS1_3repE0EEENS1_30default_config_static_selectorELNS0_4arch9wavefront6targetE0EEEvSP_.has_dyn_sized_stack, 0
	.set _ZN7rocprim17ROCPRIM_400000_NS6detail17trampoline_kernelINS0_14default_configENS1_21merge_config_selectorIiNS0_10empty_typeEEEZNS1_10merge_implIS3_N6thrust23THRUST_200600_302600_NS6detail15normal_iteratorINS9_10device_ptrIKiEEEESF_NSB_INSC_IiEEEEPS5_SI_SI_NS9_4lessIiEEEE10hipError_tPvRmT0_T1_T2_T3_T4_T5_mmT6_P12ihipStream_tbEUlT_E_NS1_11comp_targetILNS1_3genE0ELNS1_11target_archE4294967295ELNS1_3gpuE0ELNS1_3repE0EEENS1_30default_config_static_selectorELNS0_4arch9wavefront6targetE0EEEvSP_.has_recursion, 0
	.set _ZN7rocprim17ROCPRIM_400000_NS6detail17trampoline_kernelINS0_14default_configENS1_21merge_config_selectorIiNS0_10empty_typeEEEZNS1_10merge_implIS3_N6thrust23THRUST_200600_302600_NS6detail15normal_iteratorINS9_10device_ptrIKiEEEESF_NSB_INSC_IiEEEEPS5_SI_SI_NS9_4lessIiEEEE10hipError_tPvRmT0_T1_T2_T3_T4_T5_mmT6_P12ihipStream_tbEUlT_E_NS1_11comp_targetILNS1_3genE0ELNS1_11target_archE4294967295ELNS1_3gpuE0ELNS1_3repE0EEENS1_30default_config_static_selectorELNS0_4arch9wavefront6targetE0EEEvSP_.has_indirect_call, 0
	.section	.AMDGPU.csdata,"",@progbits
; Kernel info:
; codeLenInByte = 460
; TotalNumSgprs: 20
; NumVgprs: 15
; ScratchSize: 0
; MemoryBound: 0
; FloatMode: 240
; IeeeMode: 1
; LDSByteSize: 0 bytes/workgroup (compile time only)
; SGPRBlocks: 0
; VGPRBlocks: 0
; NumSGPRsForWavesPerEU: 20
; NumVGPRsForWavesPerEU: 15
; NamedBarCnt: 0
; Occupancy: 16
; WaveLimiterHint : 0
; COMPUTE_PGM_RSRC2:SCRATCH_EN: 0
; COMPUTE_PGM_RSRC2:USER_SGPR: 2
; COMPUTE_PGM_RSRC2:TRAP_HANDLER: 0
; COMPUTE_PGM_RSRC2:TGID_X_EN: 1
; COMPUTE_PGM_RSRC2:TGID_Y_EN: 0
; COMPUTE_PGM_RSRC2:TGID_Z_EN: 0
; COMPUTE_PGM_RSRC2:TIDIG_COMP_CNT: 0
	.section	.text._ZN7rocprim17ROCPRIM_400000_NS6detail17trampoline_kernelINS0_14default_configENS1_21merge_config_selectorIiNS0_10empty_typeEEEZNS1_10merge_implIS3_N6thrust23THRUST_200600_302600_NS6detail15normal_iteratorINS9_10device_ptrIKiEEEESF_NSB_INSC_IiEEEEPS5_SI_SI_NS9_4lessIiEEEE10hipError_tPvRmT0_T1_T2_T3_T4_T5_mmT6_P12ihipStream_tbEUlT_E_NS1_11comp_targetILNS1_3genE5ELNS1_11target_archE942ELNS1_3gpuE9ELNS1_3repE0EEENS1_30default_config_static_selectorELNS0_4arch9wavefront6targetE0EEEvSP_,"axG",@progbits,_ZN7rocprim17ROCPRIM_400000_NS6detail17trampoline_kernelINS0_14default_configENS1_21merge_config_selectorIiNS0_10empty_typeEEEZNS1_10merge_implIS3_N6thrust23THRUST_200600_302600_NS6detail15normal_iteratorINS9_10device_ptrIKiEEEESF_NSB_INSC_IiEEEEPS5_SI_SI_NS9_4lessIiEEEE10hipError_tPvRmT0_T1_T2_T3_T4_T5_mmT6_P12ihipStream_tbEUlT_E_NS1_11comp_targetILNS1_3genE5ELNS1_11target_archE942ELNS1_3gpuE9ELNS1_3repE0EEENS1_30default_config_static_selectorELNS0_4arch9wavefront6targetE0EEEvSP_,comdat
	.protected	_ZN7rocprim17ROCPRIM_400000_NS6detail17trampoline_kernelINS0_14default_configENS1_21merge_config_selectorIiNS0_10empty_typeEEEZNS1_10merge_implIS3_N6thrust23THRUST_200600_302600_NS6detail15normal_iteratorINS9_10device_ptrIKiEEEESF_NSB_INSC_IiEEEEPS5_SI_SI_NS9_4lessIiEEEE10hipError_tPvRmT0_T1_T2_T3_T4_T5_mmT6_P12ihipStream_tbEUlT_E_NS1_11comp_targetILNS1_3genE5ELNS1_11target_archE942ELNS1_3gpuE9ELNS1_3repE0EEENS1_30default_config_static_selectorELNS0_4arch9wavefront6targetE0EEEvSP_ ; -- Begin function _ZN7rocprim17ROCPRIM_400000_NS6detail17trampoline_kernelINS0_14default_configENS1_21merge_config_selectorIiNS0_10empty_typeEEEZNS1_10merge_implIS3_N6thrust23THRUST_200600_302600_NS6detail15normal_iteratorINS9_10device_ptrIKiEEEESF_NSB_INSC_IiEEEEPS5_SI_SI_NS9_4lessIiEEEE10hipError_tPvRmT0_T1_T2_T3_T4_T5_mmT6_P12ihipStream_tbEUlT_E_NS1_11comp_targetILNS1_3genE5ELNS1_11target_archE942ELNS1_3gpuE9ELNS1_3repE0EEENS1_30default_config_static_selectorELNS0_4arch9wavefront6targetE0EEEvSP_
	.globl	_ZN7rocprim17ROCPRIM_400000_NS6detail17trampoline_kernelINS0_14default_configENS1_21merge_config_selectorIiNS0_10empty_typeEEEZNS1_10merge_implIS3_N6thrust23THRUST_200600_302600_NS6detail15normal_iteratorINS9_10device_ptrIKiEEEESF_NSB_INSC_IiEEEEPS5_SI_SI_NS9_4lessIiEEEE10hipError_tPvRmT0_T1_T2_T3_T4_T5_mmT6_P12ihipStream_tbEUlT_E_NS1_11comp_targetILNS1_3genE5ELNS1_11target_archE942ELNS1_3gpuE9ELNS1_3repE0EEENS1_30default_config_static_selectorELNS0_4arch9wavefront6targetE0EEEvSP_
	.p2align	8
	.type	_ZN7rocprim17ROCPRIM_400000_NS6detail17trampoline_kernelINS0_14default_configENS1_21merge_config_selectorIiNS0_10empty_typeEEEZNS1_10merge_implIS3_N6thrust23THRUST_200600_302600_NS6detail15normal_iteratorINS9_10device_ptrIKiEEEESF_NSB_INSC_IiEEEEPS5_SI_SI_NS9_4lessIiEEEE10hipError_tPvRmT0_T1_T2_T3_T4_T5_mmT6_P12ihipStream_tbEUlT_E_NS1_11comp_targetILNS1_3genE5ELNS1_11target_archE942ELNS1_3gpuE9ELNS1_3repE0EEENS1_30default_config_static_selectorELNS0_4arch9wavefront6targetE0EEEvSP_,@function
_ZN7rocprim17ROCPRIM_400000_NS6detail17trampoline_kernelINS0_14default_configENS1_21merge_config_selectorIiNS0_10empty_typeEEEZNS1_10merge_implIS3_N6thrust23THRUST_200600_302600_NS6detail15normal_iteratorINS9_10device_ptrIKiEEEESF_NSB_INSC_IiEEEEPS5_SI_SI_NS9_4lessIiEEEE10hipError_tPvRmT0_T1_T2_T3_T4_T5_mmT6_P12ihipStream_tbEUlT_E_NS1_11comp_targetILNS1_3genE5ELNS1_11target_archE942ELNS1_3gpuE9ELNS1_3repE0EEENS1_30default_config_static_selectorELNS0_4arch9wavefront6targetE0EEEvSP_: ; @_ZN7rocprim17ROCPRIM_400000_NS6detail17trampoline_kernelINS0_14default_configENS1_21merge_config_selectorIiNS0_10empty_typeEEEZNS1_10merge_implIS3_N6thrust23THRUST_200600_302600_NS6detail15normal_iteratorINS9_10device_ptrIKiEEEESF_NSB_INSC_IiEEEEPS5_SI_SI_NS9_4lessIiEEEE10hipError_tPvRmT0_T1_T2_T3_T4_T5_mmT6_P12ihipStream_tbEUlT_E_NS1_11comp_targetILNS1_3genE5ELNS1_11target_archE942ELNS1_3gpuE9ELNS1_3repE0EEENS1_30default_config_static_selectorELNS0_4arch9wavefront6targetE0EEEvSP_
; %bb.0:
	.section	.rodata,"a",@progbits
	.p2align	6, 0x0
	.amdhsa_kernel _ZN7rocprim17ROCPRIM_400000_NS6detail17trampoline_kernelINS0_14default_configENS1_21merge_config_selectorIiNS0_10empty_typeEEEZNS1_10merge_implIS3_N6thrust23THRUST_200600_302600_NS6detail15normal_iteratorINS9_10device_ptrIKiEEEESF_NSB_INSC_IiEEEEPS5_SI_SI_NS9_4lessIiEEEE10hipError_tPvRmT0_T1_T2_T3_T4_T5_mmT6_P12ihipStream_tbEUlT_E_NS1_11comp_targetILNS1_3genE5ELNS1_11target_archE942ELNS1_3gpuE9ELNS1_3repE0EEENS1_30default_config_static_selectorELNS0_4arch9wavefront6targetE0EEEvSP_
		.amdhsa_group_segment_fixed_size 0
		.amdhsa_private_segment_fixed_size 0
		.amdhsa_kernarg_size 48
		.amdhsa_user_sgpr_count 2
		.amdhsa_user_sgpr_dispatch_ptr 0
		.amdhsa_user_sgpr_queue_ptr 0
		.amdhsa_user_sgpr_kernarg_segment_ptr 1
		.amdhsa_user_sgpr_dispatch_id 0
		.amdhsa_user_sgpr_kernarg_preload_length 0
		.amdhsa_user_sgpr_kernarg_preload_offset 0
		.amdhsa_user_sgpr_private_segment_size 0
		.amdhsa_wavefront_size32 1
		.amdhsa_uses_dynamic_stack 0
		.amdhsa_enable_private_segment 0
		.amdhsa_system_sgpr_workgroup_id_x 1
		.amdhsa_system_sgpr_workgroup_id_y 0
		.amdhsa_system_sgpr_workgroup_id_z 0
		.amdhsa_system_sgpr_workgroup_info 0
		.amdhsa_system_vgpr_workitem_id 0
		.amdhsa_next_free_vgpr 1
		.amdhsa_next_free_sgpr 1
		.amdhsa_named_barrier_count 0
		.amdhsa_reserve_vcc 0
		.amdhsa_float_round_mode_32 0
		.amdhsa_float_round_mode_16_64 0
		.amdhsa_float_denorm_mode_32 3
		.amdhsa_float_denorm_mode_16_64 3
		.amdhsa_fp16_overflow 0
		.amdhsa_memory_ordered 1
		.amdhsa_forward_progress 1
		.amdhsa_inst_pref_size 0
		.amdhsa_round_robin_scheduling 0
		.amdhsa_exception_fp_ieee_invalid_op 0
		.amdhsa_exception_fp_denorm_src 0
		.amdhsa_exception_fp_ieee_div_zero 0
		.amdhsa_exception_fp_ieee_overflow 0
		.amdhsa_exception_fp_ieee_underflow 0
		.amdhsa_exception_fp_ieee_inexact 0
		.amdhsa_exception_int_div_zero 0
	.end_amdhsa_kernel
	.section	.text._ZN7rocprim17ROCPRIM_400000_NS6detail17trampoline_kernelINS0_14default_configENS1_21merge_config_selectorIiNS0_10empty_typeEEEZNS1_10merge_implIS3_N6thrust23THRUST_200600_302600_NS6detail15normal_iteratorINS9_10device_ptrIKiEEEESF_NSB_INSC_IiEEEEPS5_SI_SI_NS9_4lessIiEEEE10hipError_tPvRmT0_T1_T2_T3_T4_T5_mmT6_P12ihipStream_tbEUlT_E_NS1_11comp_targetILNS1_3genE5ELNS1_11target_archE942ELNS1_3gpuE9ELNS1_3repE0EEENS1_30default_config_static_selectorELNS0_4arch9wavefront6targetE0EEEvSP_,"axG",@progbits,_ZN7rocprim17ROCPRIM_400000_NS6detail17trampoline_kernelINS0_14default_configENS1_21merge_config_selectorIiNS0_10empty_typeEEEZNS1_10merge_implIS3_N6thrust23THRUST_200600_302600_NS6detail15normal_iteratorINS9_10device_ptrIKiEEEESF_NSB_INSC_IiEEEEPS5_SI_SI_NS9_4lessIiEEEE10hipError_tPvRmT0_T1_T2_T3_T4_T5_mmT6_P12ihipStream_tbEUlT_E_NS1_11comp_targetILNS1_3genE5ELNS1_11target_archE942ELNS1_3gpuE9ELNS1_3repE0EEENS1_30default_config_static_selectorELNS0_4arch9wavefront6targetE0EEEvSP_,comdat
.Lfunc_end2:
	.size	_ZN7rocprim17ROCPRIM_400000_NS6detail17trampoline_kernelINS0_14default_configENS1_21merge_config_selectorIiNS0_10empty_typeEEEZNS1_10merge_implIS3_N6thrust23THRUST_200600_302600_NS6detail15normal_iteratorINS9_10device_ptrIKiEEEESF_NSB_INSC_IiEEEEPS5_SI_SI_NS9_4lessIiEEEE10hipError_tPvRmT0_T1_T2_T3_T4_T5_mmT6_P12ihipStream_tbEUlT_E_NS1_11comp_targetILNS1_3genE5ELNS1_11target_archE942ELNS1_3gpuE9ELNS1_3repE0EEENS1_30default_config_static_selectorELNS0_4arch9wavefront6targetE0EEEvSP_, .Lfunc_end2-_ZN7rocprim17ROCPRIM_400000_NS6detail17trampoline_kernelINS0_14default_configENS1_21merge_config_selectorIiNS0_10empty_typeEEEZNS1_10merge_implIS3_N6thrust23THRUST_200600_302600_NS6detail15normal_iteratorINS9_10device_ptrIKiEEEESF_NSB_INSC_IiEEEEPS5_SI_SI_NS9_4lessIiEEEE10hipError_tPvRmT0_T1_T2_T3_T4_T5_mmT6_P12ihipStream_tbEUlT_E_NS1_11comp_targetILNS1_3genE5ELNS1_11target_archE942ELNS1_3gpuE9ELNS1_3repE0EEENS1_30default_config_static_selectorELNS0_4arch9wavefront6targetE0EEEvSP_
                                        ; -- End function
	.set _ZN7rocprim17ROCPRIM_400000_NS6detail17trampoline_kernelINS0_14default_configENS1_21merge_config_selectorIiNS0_10empty_typeEEEZNS1_10merge_implIS3_N6thrust23THRUST_200600_302600_NS6detail15normal_iteratorINS9_10device_ptrIKiEEEESF_NSB_INSC_IiEEEEPS5_SI_SI_NS9_4lessIiEEEE10hipError_tPvRmT0_T1_T2_T3_T4_T5_mmT6_P12ihipStream_tbEUlT_E_NS1_11comp_targetILNS1_3genE5ELNS1_11target_archE942ELNS1_3gpuE9ELNS1_3repE0EEENS1_30default_config_static_selectorELNS0_4arch9wavefront6targetE0EEEvSP_.num_vgpr, 0
	.set _ZN7rocprim17ROCPRIM_400000_NS6detail17trampoline_kernelINS0_14default_configENS1_21merge_config_selectorIiNS0_10empty_typeEEEZNS1_10merge_implIS3_N6thrust23THRUST_200600_302600_NS6detail15normal_iteratorINS9_10device_ptrIKiEEEESF_NSB_INSC_IiEEEEPS5_SI_SI_NS9_4lessIiEEEE10hipError_tPvRmT0_T1_T2_T3_T4_T5_mmT6_P12ihipStream_tbEUlT_E_NS1_11comp_targetILNS1_3genE5ELNS1_11target_archE942ELNS1_3gpuE9ELNS1_3repE0EEENS1_30default_config_static_selectorELNS0_4arch9wavefront6targetE0EEEvSP_.num_agpr, 0
	.set _ZN7rocprim17ROCPRIM_400000_NS6detail17trampoline_kernelINS0_14default_configENS1_21merge_config_selectorIiNS0_10empty_typeEEEZNS1_10merge_implIS3_N6thrust23THRUST_200600_302600_NS6detail15normal_iteratorINS9_10device_ptrIKiEEEESF_NSB_INSC_IiEEEEPS5_SI_SI_NS9_4lessIiEEEE10hipError_tPvRmT0_T1_T2_T3_T4_T5_mmT6_P12ihipStream_tbEUlT_E_NS1_11comp_targetILNS1_3genE5ELNS1_11target_archE942ELNS1_3gpuE9ELNS1_3repE0EEENS1_30default_config_static_selectorELNS0_4arch9wavefront6targetE0EEEvSP_.numbered_sgpr, 0
	.set _ZN7rocprim17ROCPRIM_400000_NS6detail17trampoline_kernelINS0_14default_configENS1_21merge_config_selectorIiNS0_10empty_typeEEEZNS1_10merge_implIS3_N6thrust23THRUST_200600_302600_NS6detail15normal_iteratorINS9_10device_ptrIKiEEEESF_NSB_INSC_IiEEEEPS5_SI_SI_NS9_4lessIiEEEE10hipError_tPvRmT0_T1_T2_T3_T4_T5_mmT6_P12ihipStream_tbEUlT_E_NS1_11comp_targetILNS1_3genE5ELNS1_11target_archE942ELNS1_3gpuE9ELNS1_3repE0EEENS1_30default_config_static_selectorELNS0_4arch9wavefront6targetE0EEEvSP_.num_named_barrier, 0
	.set _ZN7rocprim17ROCPRIM_400000_NS6detail17trampoline_kernelINS0_14default_configENS1_21merge_config_selectorIiNS0_10empty_typeEEEZNS1_10merge_implIS3_N6thrust23THRUST_200600_302600_NS6detail15normal_iteratorINS9_10device_ptrIKiEEEESF_NSB_INSC_IiEEEEPS5_SI_SI_NS9_4lessIiEEEE10hipError_tPvRmT0_T1_T2_T3_T4_T5_mmT6_P12ihipStream_tbEUlT_E_NS1_11comp_targetILNS1_3genE5ELNS1_11target_archE942ELNS1_3gpuE9ELNS1_3repE0EEENS1_30default_config_static_selectorELNS0_4arch9wavefront6targetE0EEEvSP_.private_seg_size, 0
	.set _ZN7rocprim17ROCPRIM_400000_NS6detail17trampoline_kernelINS0_14default_configENS1_21merge_config_selectorIiNS0_10empty_typeEEEZNS1_10merge_implIS3_N6thrust23THRUST_200600_302600_NS6detail15normal_iteratorINS9_10device_ptrIKiEEEESF_NSB_INSC_IiEEEEPS5_SI_SI_NS9_4lessIiEEEE10hipError_tPvRmT0_T1_T2_T3_T4_T5_mmT6_P12ihipStream_tbEUlT_E_NS1_11comp_targetILNS1_3genE5ELNS1_11target_archE942ELNS1_3gpuE9ELNS1_3repE0EEENS1_30default_config_static_selectorELNS0_4arch9wavefront6targetE0EEEvSP_.uses_vcc, 0
	.set _ZN7rocprim17ROCPRIM_400000_NS6detail17trampoline_kernelINS0_14default_configENS1_21merge_config_selectorIiNS0_10empty_typeEEEZNS1_10merge_implIS3_N6thrust23THRUST_200600_302600_NS6detail15normal_iteratorINS9_10device_ptrIKiEEEESF_NSB_INSC_IiEEEEPS5_SI_SI_NS9_4lessIiEEEE10hipError_tPvRmT0_T1_T2_T3_T4_T5_mmT6_P12ihipStream_tbEUlT_E_NS1_11comp_targetILNS1_3genE5ELNS1_11target_archE942ELNS1_3gpuE9ELNS1_3repE0EEENS1_30default_config_static_selectorELNS0_4arch9wavefront6targetE0EEEvSP_.uses_flat_scratch, 0
	.set _ZN7rocprim17ROCPRIM_400000_NS6detail17trampoline_kernelINS0_14default_configENS1_21merge_config_selectorIiNS0_10empty_typeEEEZNS1_10merge_implIS3_N6thrust23THRUST_200600_302600_NS6detail15normal_iteratorINS9_10device_ptrIKiEEEESF_NSB_INSC_IiEEEEPS5_SI_SI_NS9_4lessIiEEEE10hipError_tPvRmT0_T1_T2_T3_T4_T5_mmT6_P12ihipStream_tbEUlT_E_NS1_11comp_targetILNS1_3genE5ELNS1_11target_archE942ELNS1_3gpuE9ELNS1_3repE0EEENS1_30default_config_static_selectorELNS0_4arch9wavefront6targetE0EEEvSP_.has_dyn_sized_stack, 0
	.set _ZN7rocprim17ROCPRIM_400000_NS6detail17trampoline_kernelINS0_14default_configENS1_21merge_config_selectorIiNS0_10empty_typeEEEZNS1_10merge_implIS3_N6thrust23THRUST_200600_302600_NS6detail15normal_iteratorINS9_10device_ptrIKiEEEESF_NSB_INSC_IiEEEEPS5_SI_SI_NS9_4lessIiEEEE10hipError_tPvRmT0_T1_T2_T3_T4_T5_mmT6_P12ihipStream_tbEUlT_E_NS1_11comp_targetILNS1_3genE5ELNS1_11target_archE942ELNS1_3gpuE9ELNS1_3repE0EEENS1_30default_config_static_selectorELNS0_4arch9wavefront6targetE0EEEvSP_.has_recursion, 0
	.set _ZN7rocprim17ROCPRIM_400000_NS6detail17trampoline_kernelINS0_14default_configENS1_21merge_config_selectorIiNS0_10empty_typeEEEZNS1_10merge_implIS3_N6thrust23THRUST_200600_302600_NS6detail15normal_iteratorINS9_10device_ptrIKiEEEESF_NSB_INSC_IiEEEEPS5_SI_SI_NS9_4lessIiEEEE10hipError_tPvRmT0_T1_T2_T3_T4_T5_mmT6_P12ihipStream_tbEUlT_E_NS1_11comp_targetILNS1_3genE5ELNS1_11target_archE942ELNS1_3gpuE9ELNS1_3repE0EEENS1_30default_config_static_selectorELNS0_4arch9wavefront6targetE0EEEvSP_.has_indirect_call, 0
	.section	.AMDGPU.csdata,"",@progbits
; Kernel info:
; codeLenInByte = 0
; TotalNumSgprs: 0
; NumVgprs: 0
; ScratchSize: 0
; MemoryBound: 0
; FloatMode: 240
; IeeeMode: 1
; LDSByteSize: 0 bytes/workgroup (compile time only)
; SGPRBlocks: 0
; VGPRBlocks: 0
; NumSGPRsForWavesPerEU: 1
; NumVGPRsForWavesPerEU: 1
; NamedBarCnt: 0
; Occupancy: 16
; WaveLimiterHint : 0
; COMPUTE_PGM_RSRC2:SCRATCH_EN: 0
; COMPUTE_PGM_RSRC2:USER_SGPR: 2
; COMPUTE_PGM_RSRC2:TRAP_HANDLER: 0
; COMPUTE_PGM_RSRC2:TGID_X_EN: 1
; COMPUTE_PGM_RSRC2:TGID_Y_EN: 0
; COMPUTE_PGM_RSRC2:TGID_Z_EN: 0
; COMPUTE_PGM_RSRC2:TIDIG_COMP_CNT: 0
	.section	.text._ZN7rocprim17ROCPRIM_400000_NS6detail17trampoline_kernelINS0_14default_configENS1_21merge_config_selectorIiNS0_10empty_typeEEEZNS1_10merge_implIS3_N6thrust23THRUST_200600_302600_NS6detail15normal_iteratorINS9_10device_ptrIKiEEEESF_NSB_INSC_IiEEEEPS5_SI_SI_NS9_4lessIiEEEE10hipError_tPvRmT0_T1_T2_T3_T4_T5_mmT6_P12ihipStream_tbEUlT_E_NS1_11comp_targetILNS1_3genE4ELNS1_11target_archE910ELNS1_3gpuE8ELNS1_3repE0EEENS1_30default_config_static_selectorELNS0_4arch9wavefront6targetE0EEEvSP_,"axG",@progbits,_ZN7rocprim17ROCPRIM_400000_NS6detail17trampoline_kernelINS0_14default_configENS1_21merge_config_selectorIiNS0_10empty_typeEEEZNS1_10merge_implIS3_N6thrust23THRUST_200600_302600_NS6detail15normal_iteratorINS9_10device_ptrIKiEEEESF_NSB_INSC_IiEEEEPS5_SI_SI_NS9_4lessIiEEEE10hipError_tPvRmT0_T1_T2_T3_T4_T5_mmT6_P12ihipStream_tbEUlT_E_NS1_11comp_targetILNS1_3genE4ELNS1_11target_archE910ELNS1_3gpuE8ELNS1_3repE0EEENS1_30default_config_static_selectorELNS0_4arch9wavefront6targetE0EEEvSP_,comdat
	.protected	_ZN7rocprim17ROCPRIM_400000_NS6detail17trampoline_kernelINS0_14default_configENS1_21merge_config_selectorIiNS0_10empty_typeEEEZNS1_10merge_implIS3_N6thrust23THRUST_200600_302600_NS6detail15normal_iteratorINS9_10device_ptrIKiEEEESF_NSB_INSC_IiEEEEPS5_SI_SI_NS9_4lessIiEEEE10hipError_tPvRmT0_T1_T2_T3_T4_T5_mmT6_P12ihipStream_tbEUlT_E_NS1_11comp_targetILNS1_3genE4ELNS1_11target_archE910ELNS1_3gpuE8ELNS1_3repE0EEENS1_30default_config_static_selectorELNS0_4arch9wavefront6targetE0EEEvSP_ ; -- Begin function _ZN7rocprim17ROCPRIM_400000_NS6detail17trampoline_kernelINS0_14default_configENS1_21merge_config_selectorIiNS0_10empty_typeEEEZNS1_10merge_implIS3_N6thrust23THRUST_200600_302600_NS6detail15normal_iteratorINS9_10device_ptrIKiEEEESF_NSB_INSC_IiEEEEPS5_SI_SI_NS9_4lessIiEEEE10hipError_tPvRmT0_T1_T2_T3_T4_T5_mmT6_P12ihipStream_tbEUlT_E_NS1_11comp_targetILNS1_3genE4ELNS1_11target_archE910ELNS1_3gpuE8ELNS1_3repE0EEENS1_30default_config_static_selectorELNS0_4arch9wavefront6targetE0EEEvSP_
	.globl	_ZN7rocprim17ROCPRIM_400000_NS6detail17trampoline_kernelINS0_14default_configENS1_21merge_config_selectorIiNS0_10empty_typeEEEZNS1_10merge_implIS3_N6thrust23THRUST_200600_302600_NS6detail15normal_iteratorINS9_10device_ptrIKiEEEESF_NSB_INSC_IiEEEEPS5_SI_SI_NS9_4lessIiEEEE10hipError_tPvRmT0_T1_T2_T3_T4_T5_mmT6_P12ihipStream_tbEUlT_E_NS1_11comp_targetILNS1_3genE4ELNS1_11target_archE910ELNS1_3gpuE8ELNS1_3repE0EEENS1_30default_config_static_selectorELNS0_4arch9wavefront6targetE0EEEvSP_
	.p2align	8
	.type	_ZN7rocprim17ROCPRIM_400000_NS6detail17trampoline_kernelINS0_14default_configENS1_21merge_config_selectorIiNS0_10empty_typeEEEZNS1_10merge_implIS3_N6thrust23THRUST_200600_302600_NS6detail15normal_iteratorINS9_10device_ptrIKiEEEESF_NSB_INSC_IiEEEEPS5_SI_SI_NS9_4lessIiEEEE10hipError_tPvRmT0_T1_T2_T3_T4_T5_mmT6_P12ihipStream_tbEUlT_E_NS1_11comp_targetILNS1_3genE4ELNS1_11target_archE910ELNS1_3gpuE8ELNS1_3repE0EEENS1_30default_config_static_selectorELNS0_4arch9wavefront6targetE0EEEvSP_,@function
_ZN7rocprim17ROCPRIM_400000_NS6detail17trampoline_kernelINS0_14default_configENS1_21merge_config_selectorIiNS0_10empty_typeEEEZNS1_10merge_implIS3_N6thrust23THRUST_200600_302600_NS6detail15normal_iteratorINS9_10device_ptrIKiEEEESF_NSB_INSC_IiEEEEPS5_SI_SI_NS9_4lessIiEEEE10hipError_tPvRmT0_T1_T2_T3_T4_T5_mmT6_P12ihipStream_tbEUlT_E_NS1_11comp_targetILNS1_3genE4ELNS1_11target_archE910ELNS1_3gpuE8ELNS1_3repE0EEENS1_30default_config_static_selectorELNS0_4arch9wavefront6targetE0EEEvSP_: ; @_ZN7rocprim17ROCPRIM_400000_NS6detail17trampoline_kernelINS0_14default_configENS1_21merge_config_selectorIiNS0_10empty_typeEEEZNS1_10merge_implIS3_N6thrust23THRUST_200600_302600_NS6detail15normal_iteratorINS9_10device_ptrIKiEEEESF_NSB_INSC_IiEEEEPS5_SI_SI_NS9_4lessIiEEEE10hipError_tPvRmT0_T1_T2_T3_T4_T5_mmT6_P12ihipStream_tbEUlT_E_NS1_11comp_targetILNS1_3genE4ELNS1_11target_archE910ELNS1_3gpuE8ELNS1_3repE0EEENS1_30default_config_static_selectorELNS0_4arch9wavefront6targetE0EEEvSP_
; %bb.0:
	.section	.rodata,"a",@progbits
	.p2align	6, 0x0
	.amdhsa_kernel _ZN7rocprim17ROCPRIM_400000_NS6detail17trampoline_kernelINS0_14default_configENS1_21merge_config_selectorIiNS0_10empty_typeEEEZNS1_10merge_implIS3_N6thrust23THRUST_200600_302600_NS6detail15normal_iteratorINS9_10device_ptrIKiEEEESF_NSB_INSC_IiEEEEPS5_SI_SI_NS9_4lessIiEEEE10hipError_tPvRmT0_T1_T2_T3_T4_T5_mmT6_P12ihipStream_tbEUlT_E_NS1_11comp_targetILNS1_3genE4ELNS1_11target_archE910ELNS1_3gpuE8ELNS1_3repE0EEENS1_30default_config_static_selectorELNS0_4arch9wavefront6targetE0EEEvSP_
		.amdhsa_group_segment_fixed_size 0
		.amdhsa_private_segment_fixed_size 0
		.amdhsa_kernarg_size 48
		.amdhsa_user_sgpr_count 2
		.amdhsa_user_sgpr_dispatch_ptr 0
		.amdhsa_user_sgpr_queue_ptr 0
		.amdhsa_user_sgpr_kernarg_segment_ptr 1
		.amdhsa_user_sgpr_dispatch_id 0
		.amdhsa_user_sgpr_kernarg_preload_length 0
		.amdhsa_user_sgpr_kernarg_preload_offset 0
		.amdhsa_user_sgpr_private_segment_size 0
		.amdhsa_wavefront_size32 1
		.amdhsa_uses_dynamic_stack 0
		.amdhsa_enable_private_segment 0
		.amdhsa_system_sgpr_workgroup_id_x 1
		.amdhsa_system_sgpr_workgroup_id_y 0
		.amdhsa_system_sgpr_workgroup_id_z 0
		.amdhsa_system_sgpr_workgroup_info 0
		.amdhsa_system_vgpr_workitem_id 0
		.amdhsa_next_free_vgpr 1
		.amdhsa_next_free_sgpr 1
		.amdhsa_named_barrier_count 0
		.amdhsa_reserve_vcc 0
		.amdhsa_float_round_mode_32 0
		.amdhsa_float_round_mode_16_64 0
		.amdhsa_float_denorm_mode_32 3
		.amdhsa_float_denorm_mode_16_64 3
		.amdhsa_fp16_overflow 0
		.amdhsa_memory_ordered 1
		.amdhsa_forward_progress 1
		.amdhsa_inst_pref_size 0
		.amdhsa_round_robin_scheduling 0
		.amdhsa_exception_fp_ieee_invalid_op 0
		.amdhsa_exception_fp_denorm_src 0
		.amdhsa_exception_fp_ieee_div_zero 0
		.amdhsa_exception_fp_ieee_overflow 0
		.amdhsa_exception_fp_ieee_underflow 0
		.amdhsa_exception_fp_ieee_inexact 0
		.amdhsa_exception_int_div_zero 0
	.end_amdhsa_kernel
	.section	.text._ZN7rocprim17ROCPRIM_400000_NS6detail17trampoline_kernelINS0_14default_configENS1_21merge_config_selectorIiNS0_10empty_typeEEEZNS1_10merge_implIS3_N6thrust23THRUST_200600_302600_NS6detail15normal_iteratorINS9_10device_ptrIKiEEEESF_NSB_INSC_IiEEEEPS5_SI_SI_NS9_4lessIiEEEE10hipError_tPvRmT0_T1_T2_T3_T4_T5_mmT6_P12ihipStream_tbEUlT_E_NS1_11comp_targetILNS1_3genE4ELNS1_11target_archE910ELNS1_3gpuE8ELNS1_3repE0EEENS1_30default_config_static_selectorELNS0_4arch9wavefront6targetE0EEEvSP_,"axG",@progbits,_ZN7rocprim17ROCPRIM_400000_NS6detail17trampoline_kernelINS0_14default_configENS1_21merge_config_selectorIiNS0_10empty_typeEEEZNS1_10merge_implIS3_N6thrust23THRUST_200600_302600_NS6detail15normal_iteratorINS9_10device_ptrIKiEEEESF_NSB_INSC_IiEEEEPS5_SI_SI_NS9_4lessIiEEEE10hipError_tPvRmT0_T1_T2_T3_T4_T5_mmT6_P12ihipStream_tbEUlT_E_NS1_11comp_targetILNS1_3genE4ELNS1_11target_archE910ELNS1_3gpuE8ELNS1_3repE0EEENS1_30default_config_static_selectorELNS0_4arch9wavefront6targetE0EEEvSP_,comdat
.Lfunc_end3:
	.size	_ZN7rocprim17ROCPRIM_400000_NS6detail17trampoline_kernelINS0_14default_configENS1_21merge_config_selectorIiNS0_10empty_typeEEEZNS1_10merge_implIS3_N6thrust23THRUST_200600_302600_NS6detail15normal_iteratorINS9_10device_ptrIKiEEEESF_NSB_INSC_IiEEEEPS5_SI_SI_NS9_4lessIiEEEE10hipError_tPvRmT0_T1_T2_T3_T4_T5_mmT6_P12ihipStream_tbEUlT_E_NS1_11comp_targetILNS1_3genE4ELNS1_11target_archE910ELNS1_3gpuE8ELNS1_3repE0EEENS1_30default_config_static_selectorELNS0_4arch9wavefront6targetE0EEEvSP_, .Lfunc_end3-_ZN7rocprim17ROCPRIM_400000_NS6detail17trampoline_kernelINS0_14default_configENS1_21merge_config_selectorIiNS0_10empty_typeEEEZNS1_10merge_implIS3_N6thrust23THRUST_200600_302600_NS6detail15normal_iteratorINS9_10device_ptrIKiEEEESF_NSB_INSC_IiEEEEPS5_SI_SI_NS9_4lessIiEEEE10hipError_tPvRmT0_T1_T2_T3_T4_T5_mmT6_P12ihipStream_tbEUlT_E_NS1_11comp_targetILNS1_3genE4ELNS1_11target_archE910ELNS1_3gpuE8ELNS1_3repE0EEENS1_30default_config_static_selectorELNS0_4arch9wavefront6targetE0EEEvSP_
                                        ; -- End function
	.set _ZN7rocprim17ROCPRIM_400000_NS6detail17trampoline_kernelINS0_14default_configENS1_21merge_config_selectorIiNS0_10empty_typeEEEZNS1_10merge_implIS3_N6thrust23THRUST_200600_302600_NS6detail15normal_iteratorINS9_10device_ptrIKiEEEESF_NSB_INSC_IiEEEEPS5_SI_SI_NS9_4lessIiEEEE10hipError_tPvRmT0_T1_T2_T3_T4_T5_mmT6_P12ihipStream_tbEUlT_E_NS1_11comp_targetILNS1_3genE4ELNS1_11target_archE910ELNS1_3gpuE8ELNS1_3repE0EEENS1_30default_config_static_selectorELNS0_4arch9wavefront6targetE0EEEvSP_.num_vgpr, 0
	.set _ZN7rocprim17ROCPRIM_400000_NS6detail17trampoline_kernelINS0_14default_configENS1_21merge_config_selectorIiNS0_10empty_typeEEEZNS1_10merge_implIS3_N6thrust23THRUST_200600_302600_NS6detail15normal_iteratorINS9_10device_ptrIKiEEEESF_NSB_INSC_IiEEEEPS5_SI_SI_NS9_4lessIiEEEE10hipError_tPvRmT0_T1_T2_T3_T4_T5_mmT6_P12ihipStream_tbEUlT_E_NS1_11comp_targetILNS1_3genE4ELNS1_11target_archE910ELNS1_3gpuE8ELNS1_3repE0EEENS1_30default_config_static_selectorELNS0_4arch9wavefront6targetE0EEEvSP_.num_agpr, 0
	.set _ZN7rocprim17ROCPRIM_400000_NS6detail17trampoline_kernelINS0_14default_configENS1_21merge_config_selectorIiNS0_10empty_typeEEEZNS1_10merge_implIS3_N6thrust23THRUST_200600_302600_NS6detail15normal_iteratorINS9_10device_ptrIKiEEEESF_NSB_INSC_IiEEEEPS5_SI_SI_NS9_4lessIiEEEE10hipError_tPvRmT0_T1_T2_T3_T4_T5_mmT6_P12ihipStream_tbEUlT_E_NS1_11comp_targetILNS1_3genE4ELNS1_11target_archE910ELNS1_3gpuE8ELNS1_3repE0EEENS1_30default_config_static_selectorELNS0_4arch9wavefront6targetE0EEEvSP_.numbered_sgpr, 0
	.set _ZN7rocprim17ROCPRIM_400000_NS6detail17trampoline_kernelINS0_14default_configENS1_21merge_config_selectorIiNS0_10empty_typeEEEZNS1_10merge_implIS3_N6thrust23THRUST_200600_302600_NS6detail15normal_iteratorINS9_10device_ptrIKiEEEESF_NSB_INSC_IiEEEEPS5_SI_SI_NS9_4lessIiEEEE10hipError_tPvRmT0_T1_T2_T3_T4_T5_mmT6_P12ihipStream_tbEUlT_E_NS1_11comp_targetILNS1_3genE4ELNS1_11target_archE910ELNS1_3gpuE8ELNS1_3repE0EEENS1_30default_config_static_selectorELNS0_4arch9wavefront6targetE0EEEvSP_.num_named_barrier, 0
	.set _ZN7rocprim17ROCPRIM_400000_NS6detail17trampoline_kernelINS0_14default_configENS1_21merge_config_selectorIiNS0_10empty_typeEEEZNS1_10merge_implIS3_N6thrust23THRUST_200600_302600_NS6detail15normal_iteratorINS9_10device_ptrIKiEEEESF_NSB_INSC_IiEEEEPS5_SI_SI_NS9_4lessIiEEEE10hipError_tPvRmT0_T1_T2_T3_T4_T5_mmT6_P12ihipStream_tbEUlT_E_NS1_11comp_targetILNS1_3genE4ELNS1_11target_archE910ELNS1_3gpuE8ELNS1_3repE0EEENS1_30default_config_static_selectorELNS0_4arch9wavefront6targetE0EEEvSP_.private_seg_size, 0
	.set _ZN7rocprim17ROCPRIM_400000_NS6detail17trampoline_kernelINS0_14default_configENS1_21merge_config_selectorIiNS0_10empty_typeEEEZNS1_10merge_implIS3_N6thrust23THRUST_200600_302600_NS6detail15normal_iteratorINS9_10device_ptrIKiEEEESF_NSB_INSC_IiEEEEPS5_SI_SI_NS9_4lessIiEEEE10hipError_tPvRmT0_T1_T2_T3_T4_T5_mmT6_P12ihipStream_tbEUlT_E_NS1_11comp_targetILNS1_3genE4ELNS1_11target_archE910ELNS1_3gpuE8ELNS1_3repE0EEENS1_30default_config_static_selectorELNS0_4arch9wavefront6targetE0EEEvSP_.uses_vcc, 0
	.set _ZN7rocprim17ROCPRIM_400000_NS6detail17trampoline_kernelINS0_14default_configENS1_21merge_config_selectorIiNS0_10empty_typeEEEZNS1_10merge_implIS3_N6thrust23THRUST_200600_302600_NS6detail15normal_iteratorINS9_10device_ptrIKiEEEESF_NSB_INSC_IiEEEEPS5_SI_SI_NS9_4lessIiEEEE10hipError_tPvRmT0_T1_T2_T3_T4_T5_mmT6_P12ihipStream_tbEUlT_E_NS1_11comp_targetILNS1_3genE4ELNS1_11target_archE910ELNS1_3gpuE8ELNS1_3repE0EEENS1_30default_config_static_selectorELNS0_4arch9wavefront6targetE0EEEvSP_.uses_flat_scratch, 0
	.set _ZN7rocprim17ROCPRIM_400000_NS6detail17trampoline_kernelINS0_14default_configENS1_21merge_config_selectorIiNS0_10empty_typeEEEZNS1_10merge_implIS3_N6thrust23THRUST_200600_302600_NS6detail15normal_iteratorINS9_10device_ptrIKiEEEESF_NSB_INSC_IiEEEEPS5_SI_SI_NS9_4lessIiEEEE10hipError_tPvRmT0_T1_T2_T3_T4_T5_mmT6_P12ihipStream_tbEUlT_E_NS1_11comp_targetILNS1_3genE4ELNS1_11target_archE910ELNS1_3gpuE8ELNS1_3repE0EEENS1_30default_config_static_selectorELNS0_4arch9wavefront6targetE0EEEvSP_.has_dyn_sized_stack, 0
	.set _ZN7rocprim17ROCPRIM_400000_NS6detail17trampoline_kernelINS0_14default_configENS1_21merge_config_selectorIiNS0_10empty_typeEEEZNS1_10merge_implIS3_N6thrust23THRUST_200600_302600_NS6detail15normal_iteratorINS9_10device_ptrIKiEEEESF_NSB_INSC_IiEEEEPS5_SI_SI_NS9_4lessIiEEEE10hipError_tPvRmT0_T1_T2_T3_T4_T5_mmT6_P12ihipStream_tbEUlT_E_NS1_11comp_targetILNS1_3genE4ELNS1_11target_archE910ELNS1_3gpuE8ELNS1_3repE0EEENS1_30default_config_static_selectorELNS0_4arch9wavefront6targetE0EEEvSP_.has_recursion, 0
	.set _ZN7rocprim17ROCPRIM_400000_NS6detail17trampoline_kernelINS0_14default_configENS1_21merge_config_selectorIiNS0_10empty_typeEEEZNS1_10merge_implIS3_N6thrust23THRUST_200600_302600_NS6detail15normal_iteratorINS9_10device_ptrIKiEEEESF_NSB_INSC_IiEEEEPS5_SI_SI_NS9_4lessIiEEEE10hipError_tPvRmT0_T1_T2_T3_T4_T5_mmT6_P12ihipStream_tbEUlT_E_NS1_11comp_targetILNS1_3genE4ELNS1_11target_archE910ELNS1_3gpuE8ELNS1_3repE0EEENS1_30default_config_static_selectorELNS0_4arch9wavefront6targetE0EEEvSP_.has_indirect_call, 0
	.section	.AMDGPU.csdata,"",@progbits
; Kernel info:
; codeLenInByte = 0
; TotalNumSgprs: 0
; NumVgprs: 0
; ScratchSize: 0
; MemoryBound: 0
; FloatMode: 240
; IeeeMode: 1
; LDSByteSize: 0 bytes/workgroup (compile time only)
; SGPRBlocks: 0
; VGPRBlocks: 0
; NumSGPRsForWavesPerEU: 1
; NumVGPRsForWavesPerEU: 1
; NamedBarCnt: 0
; Occupancy: 16
; WaveLimiterHint : 0
; COMPUTE_PGM_RSRC2:SCRATCH_EN: 0
; COMPUTE_PGM_RSRC2:USER_SGPR: 2
; COMPUTE_PGM_RSRC2:TRAP_HANDLER: 0
; COMPUTE_PGM_RSRC2:TGID_X_EN: 1
; COMPUTE_PGM_RSRC2:TGID_Y_EN: 0
; COMPUTE_PGM_RSRC2:TGID_Z_EN: 0
; COMPUTE_PGM_RSRC2:TIDIG_COMP_CNT: 0
	.section	.text._ZN7rocprim17ROCPRIM_400000_NS6detail17trampoline_kernelINS0_14default_configENS1_21merge_config_selectorIiNS0_10empty_typeEEEZNS1_10merge_implIS3_N6thrust23THRUST_200600_302600_NS6detail15normal_iteratorINS9_10device_ptrIKiEEEESF_NSB_INSC_IiEEEEPS5_SI_SI_NS9_4lessIiEEEE10hipError_tPvRmT0_T1_T2_T3_T4_T5_mmT6_P12ihipStream_tbEUlT_E_NS1_11comp_targetILNS1_3genE3ELNS1_11target_archE908ELNS1_3gpuE7ELNS1_3repE0EEENS1_30default_config_static_selectorELNS0_4arch9wavefront6targetE0EEEvSP_,"axG",@progbits,_ZN7rocprim17ROCPRIM_400000_NS6detail17trampoline_kernelINS0_14default_configENS1_21merge_config_selectorIiNS0_10empty_typeEEEZNS1_10merge_implIS3_N6thrust23THRUST_200600_302600_NS6detail15normal_iteratorINS9_10device_ptrIKiEEEESF_NSB_INSC_IiEEEEPS5_SI_SI_NS9_4lessIiEEEE10hipError_tPvRmT0_T1_T2_T3_T4_T5_mmT6_P12ihipStream_tbEUlT_E_NS1_11comp_targetILNS1_3genE3ELNS1_11target_archE908ELNS1_3gpuE7ELNS1_3repE0EEENS1_30default_config_static_selectorELNS0_4arch9wavefront6targetE0EEEvSP_,comdat
	.protected	_ZN7rocprim17ROCPRIM_400000_NS6detail17trampoline_kernelINS0_14default_configENS1_21merge_config_selectorIiNS0_10empty_typeEEEZNS1_10merge_implIS3_N6thrust23THRUST_200600_302600_NS6detail15normal_iteratorINS9_10device_ptrIKiEEEESF_NSB_INSC_IiEEEEPS5_SI_SI_NS9_4lessIiEEEE10hipError_tPvRmT0_T1_T2_T3_T4_T5_mmT6_P12ihipStream_tbEUlT_E_NS1_11comp_targetILNS1_3genE3ELNS1_11target_archE908ELNS1_3gpuE7ELNS1_3repE0EEENS1_30default_config_static_selectorELNS0_4arch9wavefront6targetE0EEEvSP_ ; -- Begin function _ZN7rocprim17ROCPRIM_400000_NS6detail17trampoline_kernelINS0_14default_configENS1_21merge_config_selectorIiNS0_10empty_typeEEEZNS1_10merge_implIS3_N6thrust23THRUST_200600_302600_NS6detail15normal_iteratorINS9_10device_ptrIKiEEEESF_NSB_INSC_IiEEEEPS5_SI_SI_NS9_4lessIiEEEE10hipError_tPvRmT0_T1_T2_T3_T4_T5_mmT6_P12ihipStream_tbEUlT_E_NS1_11comp_targetILNS1_3genE3ELNS1_11target_archE908ELNS1_3gpuE7ELNS1_3repE0EEENS1_30default_config_static_selectorELNS0_4arch9wavefront6targetE0EEEvSP_
	.globl	_ZN7rocprim17ROCPRIM_400000_NS6detail17trampoline_kernelINS0_14default_configENS1_21merge_config_selectorIiNS0_10empty_typeEEEZNS1_10merge_implIS3_N6thrust23THRUST_200600_302600_NS6detail15normal_iteratorINS9_10device_ptrIKiEEEESF_NSB_INSC_IiEEEEPS5_SI_SI_NS9_4lessIiEEEE10hipError_tPvRmT0_T1_T2_T3_T4_T5_mmT6_P12ihipStream_tbEUlT_E_NS1_11comp_targetILNS1_3genE3ELNS1_11target_archE908ELNS1_3gpuE7ELNS1_3repE0EEENS1_30default_config_static_selectorELNS0_4arch9wavefront6targetE0EEEvSP_
	.p2align	8
	.type	_ZN7rocprim17ROCPRIM_400000_NS6detail17trampoline_kernelINS0_14default_configENS1_21merge_config_selectorIiNS0_10empty_typeEEEZNS1_10merge_implIS3_N6thrust23THRUST_200600_302600_NS6detail15normal_iteratorINS9_10device_ptrIKiEEEESF_NSB_INSC_IiEEEEPS5_SI_SI_NS9_4lessIiEEEE10hipError_tPvRmT0_T1_T2_T3_T4_T5_mmT6_P12ihipStream_tbEUlT_E_NS1_11comp_targetILNS1_3genE3ELNS1_11target_archE908ELNS1_3gpuE7ELNS1_3repE0EEENS1_30default_config_static_selectorELNS0_4arch9wavefront6targetE0EEEvSP_,@function
_ZN7rocprim17ROCPRIM_400000_NS6detail17trampoline_kernelINS0_14default_configENS1_21merge_config_selectorIiNS0_10empty_typeEEEZNS1_10merge_implIS3_N6thrust23THRUST_200600_302600_NS6detail15normal_iteratorINS9_10device_ptrIKiEEEESF_NSB_INSC_IiEEEEPS5_SI_SI_NS9_4lessIiEEEE10hipError_tPvRmT0_T1_T2_T3_T4_T5_mmT6_P12ihipStream_tbEUlT_E_NS1_11comp_targetILNS1_3genE3ELNS1_11target_archE908ELNS1_3gpuE7ELNS1_3repE0EEENS1_30default_config_static_selectorELNS0_4arch9wavefront6targetE0EEEvSP_: ; @_ZN7rocprim17ROCPRIM_400000_NS6detail17trampoline_kernelINS0_14default_configENS1_21merge_config_selectorIiNS0_10empty_typeEEEZNS1_10merge_implIS3_N6thrust23THRUST_200600_302600_NS6detail15normal_iteratorINS9_10device_ptrIKiEEEESF_NSB_INSC_IiEEEEPS5_SI_SI_NS9_4lessIiEEEE10hipError_tPvRmT0_T1_T2_T3_T4_T5_mmT6_P12ihipStream_tbEUlT_E_NS1_11comp_targetILNS1_3genE3ELNS1_11target_archE908ELNS1_3gpuE7ELNS1_3repE0EEENS1_30default_config_static_selectorELNS0_4arch9wavefront6targetE0EEEvSP_
; %bb.0:
	.section	.rodata,"a",@progbits
	.p2align	6, 0x0
	.amdhsa_kernel _ZN7rocprim17ROCPRIM_400000_NS6detail17trampoline_kernelINS0_14default_configENS1_21merge_config_selectorIiNS0_10empty_typeEEEZNS1_10merge_implIS3_N6thrust23THRUST_200600_302600_NS6detail15normal_iteratorINS9_10device_ptrIKiEEEESF_NSB_INSC_IiEEEEPS5_SI_SI_NS9_4lessIiEEEE10hipError_tPvRmT0_T1_T2_T3_T4_T5_mmT6_P12ihipStream_tbEUlT_E_NS1_11comp_targetILNS1_3genE3ELNS1_11target_archE908ELNS1_3gpuE7ELNS1_3repE0EEENS1_30default_config_static_selectorELNS0_4arch9wavefront6targetE0EEEvSP_
		.amdhsa_group_segment_fixed_size 0
		.amdhsa_private_segment_fixed_size 0
		.amdhsa_kernarg_size 48
		.amdhsa_user_sgpr_count 2
		.amdhsa_user_sgpr_dispatch_ptr 0
		.amdhsa_user_sgpr_queue_ptr 0
		.amdhsa_user_sgpr_kernarg_segment_ptr 1
		.amdhsa_user_sgpr_dispatch_id 0
		.amdhsa_user_sgpr_kernarg_preload_length 0
		.amdhsa_user_sgpr_kernarg_preload_offset 0
		.amdhsa_user_sgpr_private_segment_size 0
		.amdhsa_wavefront_size32 1
		.amdhsa_uses_dynamic_stack 0
		.amdhsa_enable_private_segment 0
		.amdhsa_system_sgpr_workgroup_id_x 1
		.amdhsa_system_sgpr_workgroup_id_y 0
		.amdhsa_system_sgpr_workgroup_id_z 0
		.amdhsa_system_sgpr_workgroup_info 0
		.amdhsa_system_vgpr_workitem_id 0
		.amdhsa_next_free_vgpr 1
		.amdhsa_next_free_sgpr 1
		.amdhsa_named_barrier_count 0
		.amdhsa_reserve_vcc 0
		.amdhsa_float_round_mode_32 0
		.amdhsa_float_round_mode_16_64 0
		.amdhsa_float_denorm_mode_32 3
		.amdhsa_float_denorm_mode_16_64 3
		.amdhsa_fp16_overflow 0
		.amdhsa_memory_ordered 1
		.amdhsa_forward_progress 1
		.amdhsa_inst_pref_size 0
		.amdhsa_round_robin_scheduling 0
		.amdhsa_exception_fp_ieee_invalid_op 0
		.amdhsa_exception_fp_denorm_src 0
		.amdhsa_exception_fp_ieee_div_zero 0
		.amdhsa_exception_fp_ieee_overflow 0
		.amdhsa_exception_fp_ieee_underflow 0
		.amdhsa_exception_fp_ieee_inexact 0
		.amdhsa_exception_int_div_zero 0
	.end_amdhsa_kernel
	.section	.text._ZN7rocprim17ROCPRIM_400000_NS6detail17trampoline_kernelINS0_14default_configENS1_21merge_config_selectorIiNS0_10empty_typeEEEZNS1_10merge_implIS3_N6thrust23THRUST_200600_302600_NS6detail15normal_iteratorINS9_10device_ptrIKiEEEESF_NSB_INSC_IiEEEEPS5_SI_SI_NS9_4lessIiEEEE10hipError_tPvRmT0_T1_T2_T3_T4_T5_mmT6_P12ihipStream_tbEUlT_E_NS1_11comp_targetILNS1_3genE3ELNS1_11target_archE908ELNS1_3gpuE7ELNS1_3repE0EEENS1_30default_config_static_selectorELNS0_4arch9wavefront6targetE0EEEvSP_,"axG",@progbits,_ZN7rocprim17ROCPRIM_400000_NS6detail17trampoline_kernelINS0_14default_configENS1_21merge_config_selectorIiNS0_10empty_typeEEEZNS1_10merge_implIS3_N6thrust23THRUST_200600_302600_NS6detail15normal_iteratorINS9_10device_ptrIKiEEEESF_NSB_INSC_IiEEEEPS5_SI_SI_NS9_4lessIiEEEE10hipError_tPvRmT0_T1_T2_T3_T4_T5_mmT6_P12ihipStream_tbEUlT_E_NS1_11comp_targetILNS1_3genE3ELNS1_11target_archE908ELNS1_3gpuE7ELNS1_3repE0EEENS1_30default_config_static_selectorELNS0_4arch9wavefront6targetE0EEEvSP_,comdat
.Lfunc_end4:
	.size	_ZN7rocprim17ROCPRIM_400000_NS6detail17trampoline_kernelINS0_14default_configENS1_21merge_config_selectorIiNS0_10empty_typeEEEZNS1_10merge_implIS3_N6thrust23THRUST_200600_302600_NS6detail15normal_iteratorINS9_10device_ptrIKiEEEESF_NSB_INSC_IiEEEEPS5_SI_SI_NS9_4lessIiEEEE10hipError_tPvRmT0_T1_T2_T3_T4_T5_mmT6_P12ihipStream_tbEUlT_E_NS1_11comp_targetILNS1_3genE3ELNS1_11target_archE908ELNS1_3gpuE7ELNS1_3repE0EEENS1_30default_config_static_selectorELNS0_4arch9wavefront6targetE0EEEvSP_, .Lfunc_end4-_ZN7rocprim17ROCPRIM_400000_NS6detail17trampoline_kernelINS0_14default_configENS1_21merge_config_selectorIiNS0_10empty_typeEEEZNS1_10merge_implIS3_N6thrust23THRUST_200600_302600_NS6detail15normal_iteratorINS9_10device_ptrIKiEEEESF_NSB_INSC_IiEEEEPS5_SI_SI_NS9_4lessIiEEEE10hipError_tPvRmT0_T1_T2_T3_T4_T5_mmT6_P12ihipStream_tbEUlT_E_NS1_11comp_targetILNS1_3genE3ELNS1_11target_archE908ELNS1_3gpuE7ELNS1_3repE0EEENS1_30default_config_static_selectorELNS0_4arch9wavefront6targetE0EEEvSP_
                                        ; -- End function
	.set _ZN7rocprim17ROCPRIM_400000_NS6detail17trampoline_kernelINS0_14default_configENS1_21merge_config_selectorIiNS0_10empty_typeEEEZNS1_10merge_implIS3_N6thrust23THRUST_200600_302600_NS6detail15normal_iteratorINS9_10device_ptrIKiEEEESF_NSB_INSC_IiEEEEPS5_SI_SI_NS9_4lessIiEEEE10hipError_tPvRmT0_T1_T2_T3_T4_T5_mmT6_P12ihipStream_tbEUlT_E_NS1_11comp_targetILNS1_3genE3ELNS1_11target_archE908ELNS1_3gpuE7ELNS1_3repE0EEENS1_30default_config_static_selectorELNS0_4arch9wavefront6targetE0EEEvSP_.num_vgpr, 0
	.set _ZN7rocprim17ROCPRIM_400000_NS6detail17trampoline_kernelINS0_14default_configENS1_21merge_config_selectorIiNS0_10empty_typeEEEZNS1_10merge_implIS3_N6thrust23THRUST_200600_302600_NS6detail15normal_iteratorINS9_10device_ptrIKiEEEESF_NSB_INSC_IiEEEEPS5_SI_SI_NS9_4lessIiEEEE10hipError_tPvRmT0_T1_T2_T3_T4_T5_mmT6_P12ihipStream_tbEUlT_E_NS1_11comp_targetILNS1_3genE3ELNS1_11target_archE908ELNS1_3gpuE7ELNS1_3repE0EEENS1_30default_config_static_selectorELNS0_4arch9wavefront6targetE0EEEvSP_.num_agpr, 0
	.set _ZN7rocprim17ROCPRIM_400000_NS6detail17trampoline_kernelINS0_14default_configENS1_21merge_config_selectorIiNS0_10empty_typeEEEZNS1_10merge_implIS3_N6thrust23THRUST_200600_302600_NS6detail15normal_iteratorINS9_10device_ptrIKiEEEESF_NSB_INSC_IiEEEEPS5_SI_SI_NS9_4lessIiEEEE10hipError_tPvRmT0_T1_T2_T3_T4_T5_mmT6_P12ihipStream_tbEUlT_E_NS1_11comp_targetILNS1_3genE3ELNS1_11target_archE908ELNS1_3gpuE7ELNS1_3repE0EEENS1_30default_config_static_selectorELNS0_4arch9wavefront6targetE0EEEvSP_.numbered_sgpr, 0
	.set _ZN7rocprim17ROCPRIM_400000_NS6detail17trampoline_kernelINS0_14default_configENS1_21merge_config_selectorIiNS0_10empty_typeEEEZNS1_10merge_implIS3_N6thrust23THRUST_200600_302600_NS6detail15normal_iteratorINS9_10device_ptrIKiEEEESF_NSB_INSC_IiEEEEPS5_SI_SI_NS9_4lessIiEEEE10hipError_tPvRmT0_T1_T2_T3_T4_T5_mmT6_P12ihipStream_tbEUlT_E_NS1_11comp_targetILNS1_3genE3ELNS1_11target_archE908ELNS1_3gpuE7ELNS1_3repE0EEENS1_30default_config_static_selectorELNS0_4arch9wavefront6targetE0EEEvSP_.num_named_barrier, 0
	.set _ZN7rocprim17ROCPRIM_400000_NS6detail17trampoline_kernelINS0_14default_configENS1_21merge_config_selectorIiNS0_10empty_typeEEEZNS1_10merge_implIS3_N6thrust23THRUST_200600_302600_NS6detail15normal_iteratorINS9_10device_ptrIKiEEEESF_NSB_INSC_IiEEEEPS5_SI_SI_NS9_4lessIiEEEE10hipError_tPvRmT0_T1_T2_T3_T4_T5_mmT6_P12ihipStream_tbEUlT_E_NS1_11comp_targetILNS1_3genE3ELNS1_11target_archE908ELNS1_3gpuE7ELNS1_3repE0EEENS1_30default_config_static_selectorELNS0_4arch9wavefront6targetE0EEEvSP_.private_seg_size, 0
	.set _ZN7rocprim17ROCPRIM_400000_NS6detail17trampoline_kernelINS0_14default_configENS1_21merge_config_selectorIiNS0_10empty_typeEEEZNS1_10merge_implIS3_N6thrust23THRUST_200600_302600_NS6detail15normal_iteratorINS9_10device_ptrIKiEEEESF_NSB_INSC_IiEEEEPS5_SI_SI_NS9_4lessIiEEEE10hipError_tPvRmT0_T1_T2_T3_T4_T5_mmT6_P12ihipStream_tbEUlT_E_NS1_11comp_targetILNS1_3genE3ELNS1_11target_archE908ELNS1_3gpuE7ELNS1_3repE0EEENS1_30default_config_static_selectorELNS0_4arch9wavefront6targetE0EEEvSP_.uses_vcc, 0
	.set _ZN7rocprim17ROCPRIM_400000_NS6detail17trampoline_kernelINS0_14default_configENS1_21merge_config_selectorIiNS0_10empty_typeEEEZNS1_10merge_implIS3_N6thrust23THRUST_200600_302600_NS6detail15normal_iteratorINS9_10device_ptrIKiEEEESF_NSB_INSC_IiEEEEPS5_SI_SI_NS9_4lessIiEEEE10hipError_tPvRmT0_T1_T2_T3_T4_T5_mmT6_P12ihipStream_tbEUlT_E_NS1_11comp_targetILNS1_3genE3ELNS1_11target_archE908ELNS1_3gpuE7ELNS1_3repE0EEENS1_30default_config_static_selectorELNS0_4arch9wavefront6targetE0EEEvSP_.uses_flat_scratch, 0
	.set _ZN7rocprim17ROCPRIM_400000_NS6detail17trampoline_kernelINS0_14default_configENS1_21merge_config_selectorIiNS0_10empty_typeEEEZNS1_10merge_implIS3_N6thrust23THRUST_200600_302600_NS6detail15normal_iteratorINS9_10device_ptrIKiEEEESF_NSB_INSC_IiEEEEPS5_SI_SI_NS9_4lessIiEEEE10hipError_tPvRmT0_T1_T2_T3_T4_T5_mmT6_P12ihipStream_tbEUlT_E_NS1_11comp_targetILNS1_3genE3ELNS1_11target_archE908ELNS1_3gpuE7ELNS1_3repE0EEENS1_30default_config_static_selectorELNS0_4arch9wavefront6targetE0EEEvSP_.has_dyn_sized_stack, 0
	.set _ZN7rocprim17ROCPRIM_400000_NS6detail17trampoline_kernelINS0_14default_configENS1_21merge_config_selectorIiNS0_10empty_typeEEEZNS1_10merge_implIS3_N6thrust23THRUST_200600_302600_NS6detail15normal_iteratorINS9_10device_ptrIKiEEEESF_NSB_INSC_IiEEEEPS5_SI_SI_NS9_4lessIiEEEE10hipError_tPvRmT0_T1_T2_T3_T4_T5_mmT6_P12ihipStream_tbEUlT_E_NS1_11comp_targetILNS1_3genE3ELNS1_11target_archE908ELNS1_3gpuE7ELNS1_3repE0EEENS1_30default_config_static_selectorELNS0_4arch9wavefront6targetE0EEEvSP_.has_recursion, 0
	.set _ZN7rocprim17ROCPRIM_400000_NS6detail17trampoline_kernelINS0_14default_configENS1_21merge_config_selectorIiNS0_10empty_typeEEEZNS1_10merge_implIS3_N6thrust23THRUST_200600_302600_NS6detail15normal_iteratorINS9_10device_ptrIKiEEEESF_NSB_INSC_IiEEEEPS5_SI_SI_NS9_4lessIiEEEE10hipError_tPvRmT0_T1_T2_T3_T4_T5_mmT6_P12ihipStream_tbEUlT_E_NS1_11comp_targetILNS1_3genE3ELNS1_11target_archE908ELNS1_3gpuE7ELNS1_3repE0EEENS1_30default_config_static_selectorELNS0_4arch9wavefront6targetE0EEEvSP_.has_indirect_call, 0
	.section	.AMDGPU.csdata,"",@progbits
; Kernel info:
; codeLenInByte = 0
; TotalNumSgprs: 0
; NumVgprs: 0
; ScratchSize: 0
; MemoryBound: 0
; FloatMode: 240
; IeeeMode: 1
; LDSByteSize: 0 bytes/workgroup (compile time only)
; SGPRBlocks: 0
; VGPRBlocks: 0
; NumSGPRsForWavesPerEU: 1
; NumVGPRsForWavesPerEU: 1
; NamedBarCnt: 0
; Occupancy: 16
; WaveLimiterHint : 0
; COMPUTE_PGM_RSRC2:SCRATCH_EN: 0
; COMPUTE_PGM_RSRC2:USER_SGPR: 2
; COMPUTE_PGM_RSRC2:TRAP_HANDLER: 0
; COMPUTE_PGM_RSRC2:TGID_X_EN: 1
; COMPUTE_PGM_RSRC2:TGID_Y_EN: 0
; COMPUTE_PGM_RSRC2:TGID_Z_EN: 0
; COMPUTE_PGM_RSRC2:TIDIG_COMP_CNT: 0
	.section	.text._ZN7rocprim17ROCPRIM_400000_NS6detail17trampoline_kernelINS0_14default_configENS1_21merge_config_selectorIiNS0_10empty_typeEEEZNS1_10merge_implIS3_N6thrust23THRUST_200600_302600_NS6detail15normal_iteratorINS9_10device_ptrIKiEEEESF_NSB_INSC_IiEEEEPS5_SI_SI_NS9_4lessIiEEEE10hipError_tPvRmT0_T1_T2_T3_T4_T5_mmT6_P12ihipStream_tbEUlT_E_NS1_11comp_targetILNS1_3genE2ELNS1_11target_archE906ELNS1_3gpuE6ELNS1_3repE0EEENS1_30default_config_static_selectorELNS0_4arch9wavefront6targetE0EEEvSP_,"axG",@progbits,_ZN7rocprim17ROCPRIM_400000_NS6detail17trampoline_kernelINS0_14default_configENS1_21merge_config_selectorIiNS0_10empty_typeEEEZNS1_10merge_implIS3_N6thrust23THRUST_200600_302600_NS6detail15normal_iteratorINS9_10device_ptrIKiEEEESF_NSB_INSC_IiEEEEPS5_SI_SI_NS9_4lessIiEEEE10hipError_tPvRmT0_T1_T2_T3_T4_T5_mmT6_P12ihipStream_tbEUlT_E_NS1_11comp_targetILNS1_3genE2ELNS1_11target_archE906ELNS1_3gpuE6ELNS1_3repE0EEENS1_30default_config_static_selectorELNS0_4arch9wavefront6targetE0EEEvSP_,comdat
	.protected	_ZN7rocprim17ROCPRIM_400000_NS6detail17trampoline_kernelINS0_14default_configENS1_21merge_config_selectorIiNS0_10empty_typeEEEZNS1_10merge_implIS3_N6thrust23THRUST_200600_302600_NS6detail15normal_iteratorINS9_10device_ptrIKiEEEESF_NSB_INSC_IiEEEEPS5_SI_SI_NS9_4lessIiEEEE10hipError_tPvRmT0_T1_T2_T3_T4_T5_mmT6_P12ihipStream_tbEUlT_E_NS1_11comp_targetILNS1_3genE2ELNS1_11target_archE906ELNS1_3gpuE6ELNS1_3repE0EEENS1_30default_config_static_selectorELNS0_4arch9wavefront6targetE0EEEvSP_ ; -- Begin function _ZN7rocprim17ROCPRIM_400000_NS6detail17trampoline_kernelINS0_14default_configENS1_21merge_config_selectorIiNS0_10empty_typeEEEZNS1_10merge_implIS3_N6thrust23THRUST_200600_302600_NS6detail15normal_iteratorINS9_10device_ptrIKiEEEESF_NSB_INSC_IiEEEEPS5_SI_SI_NS9_4lessIiEEEE10hipError_tPvRmT0_T1_T2_T3_T4_T5_mmT6_P12ihipStream_tbEUlT_E_NS1_11comp_targetILNS1_3genE2ELNS1_11target_archE906ELNS1_3gpuE6ELNS1_3repE0EEENS1_30default_config_static_selectorELNS0_4arch9wavefront6targetE0EEEvSP_
	.globl	_ZN7rocprim17ROCPRIM_400000_NS6detail17trampoline_kernelINS0_14default_configENS1_21merge_config_selectorIiNS0_10empty_typeEEEZNS1_10merge_implIS3_N6thrust23THRUST_200600_302600_NS6detail15normal_iteratorINS9_10device_ptrIKiEEEESF_NSB_INSC_IiEEEEPS5_SI_SI_NS9_4lessIiEEEE10hipError_tPvRmT0_T1_T2_T3_T4_T5_mmT6_P12ihipStream_tbEUlT_E_NS1_11comp_targetILNS1_3genE2ELNS1_11target_archE906ELNS1_3gpuE6ELNS1_3repE0EEENS1_30default_config_static_selectorELNS0_4arch9wavefront6targetE0EEEvSP_
	.p2align	8
	.type	_ZN7rocprim17ROCPRIM_400000_NS6detail17trampoline_kernelINS0_14default_configENS1_21merge_config_selectorIiNS0_10empty_typeEEEZNS1_10merge_implIS3_N6thrust23THRUST_200600_302600_NS6detail15normal_iteratorINS9_10device_ptrIKiEEEESF_NSB_INSC_IiEEEEPS5_SI_SI_NS9_4lessIiEEEE10hipError_tPvRmT0_T1_T2_T3_T4_T5_mmT6_P12ihipStream_tbEUlT_E_NS1_11comp_targetILNS1_3genE2ELNS1_11target_archE906ELNS1_3gpuE6ELNS1_3repE0EEENS1_30default_config_static_selectorELNS0_4arch9wavefront6targetE0EEEvSP_,@function
_ZN7rocprim17ROCPRIM_400000_NS6detail17trampoline_kernelINS0_14default_configENS1_21merge_config_selectorIiNS0_10empty_typeEEEZNS1_10merge_implIS3_N6thrust23THRUST_200600_302600_NS6detail15normal_iteratorINS9_10device_ptrIKiEEEESF_NSB_INSC_IiEEEEPS5_SI_SI_NS9_4lessIiEEEE10hipError_tPvRmT0_T1_T2_T3_T4_T5_mmT6_P12ihipStream_tbEUlT_E_NS1_11comp_targetILNS1_3genE2ELNS1_11target_archE906ELNS1_3gpuE6ELNS1_3repE0EEENS1_30default_config_static_selectorELNS0_4arch9wavefront6targetE0EEEvSP_: ; @_ZN7rocprim17ROCPRIM_400000_NS6detail17trampoline_kernelINS0_14default_configENS1_21merge_config_selectorIiNS0_10empty_typeEEEZNS1_10merge_implIS3_N6thrust23THRUST_200600_302600_NS6detail15normal_iteratorINS9_10device_ptrIKiEEEESF_NSB_INSC_IiEEEEPS5_SI_SI_NS9_4lessIiEEEE10hipError_tPvRmT0_T1_T2_T3_T4_T5_mmT6_P12ihipStream_tbEUlT_E_NS1_11comp_targetILNS1_3genE2ELNS1_11target_archE906ELNS1_3gpuE6ELNS1_3repE0EEENS1_30default_config_static_selectorELNS0_4arch9wavefront6targetE0EEEvSP_
; %bb.0:
	.section	.rodata,"a",@progbits
	.p2align	6, 0x0
	.amdhsa_kernel _ZN7rocprim17ROCPRIM_400000_NS6detail17trampoline_kernelINS0_14default_configENS1_21merge_config_selectorIiNS0_10empty_typeEEEZNS1_10merge_implIS3_N6thrust23THRUST_200600_302600_NS6detail15normal_iteratorINS9_10device_ptrIKiEEEESF_NSB_INSC_IiEEEEPS5_SI_SI_NS9_4lessIiEEEE10hipError_tPvRmT0_T1_T2_T3_T4_T5_mmT6_P12ihipStream_tbEUlT_E_NS1_11comp_targetILNS1_3genE2ELNS1_11target_archE906ELNS1_3gpuE6ELNS1_3repE0EEENS1_30default_config_static_selectorELNS0_4arch9wavefront6targetE0EEEvSP_
		.amdhsa_group_segment_fixed_size 0
		.amdhsa_private_segment_fixed_size 0
		.amdhsa_kernarg_size 48
		.amdhsa_user_sgpr_count 2
		.amdhsa_user_sgpr_dispatch_ptr 0
		.amdhsa_user_sgpr_queue_ptr 0
		.amdhsa_user_sgpr_kernarg_segment_ptr 1
		.amdhsa_user_sgpr_dispatch_id 0
		.amdhsa_user_sgpr_kernarg_preload_length 0
		.amdhsa_user_sgpr_kernarg_preload_offset 0
		.amdhsa_user_sgpr_private_segment_size 0
		.amdhsa_wavefront_size32 1
		.amdhsa_uses_dynamic_stack 0
		.amdhsa_enable_private_segment 0
		.amdhsa_system_sgpr_workgroup_id_x 1
		.amdhsa_system_sgpr_workgroup_id_y 0
		.amdhsa_system_sgpr_workgroup_id_z 0
		.amdhsa_system_sgpr_workgroup_info 0
		.amdhsa_system_vgpr_workitem_id 0
		.amdhsa_next_free_vgpr 1
		.amdhsa_next_free_sgpr 1
		.amdhsa_named_barrier_count 0
		.amdhsa_reserve_vcc 0
		.amdhsa_float_round_mode_32 0
		.amdhsa_float_round_mode_16_64 0
		.amdhsa_float_denorm_mode_32 3
		.amdhsa_float_denorm_mode_16_64 3
		.amdhsa_fp16_overflow 0
		.amdhsa_memory_ordered 1
		.amdhsa_forward_progress 1
		.amdhsa_inst_pref_size 0
		.amdhsa_round_robin_scheduling 0
		.amdhsa_exception_fp_ieee_invalid_op 0
		.amdhsa_exception_fp_denorm_src 0
		.amdhsa_exception_fp_ieee_div_zero 0
		.amdhsa_exception_fp_ieee_overflow 0
		.amdhsa_exception_fp_ieee_underflow 0
		.amdhsa_exception_fp_ieee_inexact 0
		.amdhsa_exception_int_div_zero 0
	.end_amdhsa_kernel
	.section	.text._ZN7rocprim17ROCPRIM_400000_NS6detail17trampoline_kernelINS0_14default_configENS1_21merge_config_selectorIiNS0_10empty_typeEEEZNS1_10merge_implIS3_N6thrust23THRUST_200600_302600_NS6detail15normal_iteratorINS9_10device_ptrIKiEEEESF_NSB_INSC_IiEEEEPS5_SI_SI_NS9_4lessIiEEEE10hipError_tPvRmT0_T1_T2_T3_T4_T5_mmT6_P12ihipStream_tbEUlT_E_NS1_11comp_targetILNS1_3genE2ELNS1_11target_archE906ELNS1_3gpuE6ELNS1_3repE0EEENS1_30default_config_static_selectorELNS0_4arch9wavefront6targetE0EEEvSP_,"axG",@progbits,_ZN7rocprim17ROCPRIM_400000_NS6detail17trampoline_kernelINS0_14default_configENS1_21merge_config_selectorIiNS0_10empty_typeEEEZNS1_10merge_implIS3_N6thrust23THRUST_200600_302600_NS6detail15normal_iteratorINS9_10device_ptrIKiEEEESF_NSB_INSC_IiEEEEPS5_SI_SI_NS9_4lessIiEEEE10hipError_tPvRmT0_T1_T2_T3_T4_T5_mmT6_P12ihipStream_tbEUlT_E_NS1_11comp_targetILNS1_3genE2ELNS1_11target_archE906ELNS1_3gpuE6ELNS1_3repE0EEENS1_30default_config_static_selectorELNS0_4arch9wavefront6targetE0EEEvSP_,comdat
.Lfunc_end5:
	.size	_ZN7rocprim17ROCPRIM_400000_NS6detail17trampoline_kernelINS0_14default_configENS1_21merge_config_selectorIiNS0_10empty_typeEEEZNS1_10merge_implIS3_N6thrust23THRUST_200600_302600_NS6detail15normal_iteratorINS9_10device_ptrIKiEEEESF_NSB_INSC_IiEEEEPS5_SI_SI_NS9_4lessIiEEEE10hipError_tPvRmT0_T1_T2_T3_T4_T5_mmT6_P12ihipStream_tbEUlT_E_NS1_11comp_targetILNS1_3genE2ELNS1_11target_archE906ELNS1_3gpuE6ELNS1_3repE0EEENS1_30default_config_static_selectorELNS0_4arch9wavefront6targetE0EEEvSP_, .Lfunc_end5-_ZN7rocprim17ROCPRIM_400000_NS6detail17trampoline_kernelINS0_14default_configENS1_21merge_config_selectorIiNS0_10empty_typeEEEZNS1_10merge_implIS3_N6thrust23THRUST_200600_302600_NS6detail15normal_iteratorINS9_10device_ptrIKiEEEESF_NSB_INSC_IiEEEEPS5_SI_SI_NS9_4lessIiEEEE10hipError_tPvRmT0_T1_T2_T3_T4_T5_mmT6_P12ihipStream_tbEUlT_E_NS1_11comp_targetILNS1_3genE2ELNS1_11target_archE906ELNS1_3gpuE6ELNS1_3repE0EEENS1_30default_config_static_selectorELNS0_4arch9wavefront6targetE0EEEvSP_
                                        ; -- End function
	.set _ZN7rocprim17ROCPRIM_400000_NS6detail17trampoline_kernelINS0_14default_configENS1_21merge_config_selectorIiNS0_10empty_typeEEEZNS1_10merge_implIS3_N6thrust23THRUST_200600_302600_NS6detail15normal_iteratorINS9_10device_ptrIKiEEEESF_NSB_INSC_IiEEEEPS5_SI_SI_NS9_4lessIiEEEE10hipError_tPvRmT0_T1_T2_T3_T4_T5_mmT6_P12ihipStream_tbEUlT_E_NS1_11comp_targetILNS1_3genE2ELNS1_11target_archE906ELNS1_3gpuE6ELNS1_3repE0EEENS1_30default_config_static_selectorELNS0_4arch9wavefront6targetE0EEEvSP_.num_vgpr, 0
	.set _ZN7rocprim17ROCPRIM_400000_NS6detail17trampoline_kernelINS0_14default_configENS1_21merge_config_selectorIiNS0_10empty_typeEEEZNS1_10merge_implIS3_N6thrust23THRUST_200600_302600_NS6detail15normal_iteratorINS9_10device_ptrIKiEEEESF_NSB_INSC_IiEEEEPS5_SI_SI_NS9_4lessIiEEEE10hipError_tPvRmT0_T1_T2_T3_T4_T5_mmT6_P12ihipStream_tbEUlT_E_NS1_11comp_targetILNS1_3genE2ELNS1_11target_archE906ELNS1_3gpuE6ELNS1_3repE0EEENS1_30default_config_static_selectorELNS0_4arch9wavefront6targetE0EEEvSP_.num_agpr, 0
	.set _ZN7rocprim17ROCPRIM_400000_NS6detail17trampoline_kernelINS0_14default_configENS1_21merge_config_selectorIiNS0_10empty_typeEEEZNS1_10merge_implIS3_N6thrust23THRUST_200600_302600_NS6detail15normal_iteratorINS9_10device_ptrIKiEEEESF_NSB_INSC_IiEEEEPS5_SI_SI_NS9_4lessIiEEEE10hipError_tPvRmT0_T1_T2_T3_T4_T5_mmT6_P12ihipStream_tbEUlT_E_NS1_11comp_targetILNS1_3genE2ELNS1_11target_archE906ELNS1_3gpuE6ELNS1_3repE0EEENS1_30default_config_static_selectorELNS0_4arch9wavefront6targetE0EEEvSP_.numbered_sgpr, 0
	.set _ZN7rocprim17ROCPRIM_400000_NS6detail17trampoline_kernelINS0_14default_configENS1_21merge_config_selectorIiNS0_10empty_typeEEEZNS1_10merge_implIS3_N6thrust23THRUST_200600_302600_NS6detail15normal_iteratorINS9_10device_ptrIKiEEEESF_NSB_INSC_IiEEEEPS5_SI_SI_NS9_4lessIiEEEE10hipError_tPvRmT0_T1_T2_T3_T4_T5_mmT6_P12ihipStream_tbEUlT_E_NS1_11comp_targetILNS1_3genE2ELNS1_11target_archE906ELNS1_3gpuE6ELNS1_3repE0EEENS1_30default_config_static_selectorELNS0_4arch9wavefront6targetE0EEEvSP_.num_named_barrier, 0
	.set _ZN7rocprim17ROCPRIM_400000_NS6detail17trampoline_kernelINS0_14default_configENS1_21merge_config_selectorIiNS0_10empty_typeEEEZNS1_10merge_implIS3_N6thrust23THRUST_200600_302600_NS6detail15normal_iteratorINS9_10device_ptrIKiEEEESF_NSB_INSC_IiEEEEPS5_SI_SI_NS9_4lessIiEEEE10hipError_tPvRmT0_T1_T2_T3_T4_T5_mmT6_P12ihipStream_tbEUlT_E_NS1_11comp_targetILNS1_3genE2ELNS1_11target_archE906ELNS1_3gpuE6ELNS1_3repE0EEENS1_30default_config_static_selectorELNS0_4arch9wavefront6targetE0EEEvSP_.private_seg_size, 0
	.set _ZN7rocprim17ROCPRIM_400000_NS6detail17trampoline_kernelINS0_14default_configENS1_21merge_config_selectorIiNS0_10empty_typeEEEZNS1_10merge_implIS3_N6thrust23THRUST_200600_302600_NS6detail15normal_iteratorINS9_10device_ptrIKiEEEESF_NSB_INSC_IiEEEEPS5_SI_SI_NS9_4lessIiEEEE10hipError_tPvRmT0_T1_T2_T3_T4_T5_mmT6_P12ihipStream_tbEUlT_E_NS1_11comp_targetILNS1_3genE2ELNS1_11target_archE906ELNS1_3gpuE6ELNS1_3repE0EEENS1_30default_config_static_selectorELNS0_4arch9wavefront6targetE0EEEvSP_.uses_vcc, 0
	.set _ZN7rocprim17ROCPRIM_400000_NS6detail17trampoline_kernelINS0_14default_configENS1_21merge_config_selectorIiNS0_10empty_typeEEEZNS1_10merge_implIS3_N6thrust23THRUST_200600_302600_NS6detail15normal_iteratorINS9_10device_ptrIKiEEEESF_NSB_INSC_IiEEEEPS5_SI_SI_NS9_4lessIiEEEE10hipError_tPvRmT0_T1_T2_T3_T4_T5_mmT6_P12ihipStream_tbEUlT_E_NS1_11comp_targetILNS1_3genE2ELNS1_11target_archE906ELNS1_3gpuE6ELNS1_3repE0EEENS1_30default_config_static_selectorELNS0_4arch9wavefront6targetE0EEEvSP_.uses_flat_scratch, 0
	.set _ZN7rocprim17ROCPRIM_400000_NS6detail17trampoline_kernelINS0_14default_configENS1_21merge_config_selectorIiNS0_10empty_typeEEEZNS1_10merge_implIS3_N6thrust23THRUST_200600_302600_NS6detail15normal_iteratorINS9_10device_ptrIKiEEEESF_NSB_INSC_IiEEEEPS5_SI_SI_NS9_4lessIiEEEE10hipError_tPvRmT0_T1_T2_T3_T4_T5_mmT6_P12ihipStream_tbEUlT_E_NS1_11comp_targetILNS1_3genE2ELNS1_11target_archE906ELNS1_3gpuE6ELNS1_3repE0EEENS1_30default_config_static_selectorELNS0_4arch9wavefront6targetE0EEEvSP_.has_dyn_sized_stack, 0
	.set _ZN7rocprim17ROCPRIM_400000_NS6detail17trampoline_kernelINS0_14default_configENS1_21merge_config_selectorIiNS0_10empty_typeEEEZNS1_10merge_implIS3_N6thrust23THRUST_200600_302600_NS6detail15normal_iteratorINS9_10device_ptrIKiEEEESF_NSB_INSC_IiEEEEPS5_SI_SI_NS9_4lessIiEEEE10hipError_tPvRmT0_T1_T2_T3_T4_T5_mmT6_P12ihipStream_tbEUlT_E_NS1_11comp_targetILNS1_3genE2ELNS1_11target_archE906ELNS1_3gpuE6ELNS1_3repE0EEENS1_30default_config_static_selectorELNS0_4arch9wavefront6targetE0EEEvSP_.has_recursion, 0
	.set _ZN7rocprim17ROCPRIM_400000_NS6detail17trampoline_kernelINS0_14default_configENS1_21merge_config_selectorIiNS0_10empty_typeEEEZNS1_10merge_implIS3_N6thrust23THRUST_200600_302600_NS6detail15normal_iteratorINS9_10device_ptrIKiEEEESF_NSB_INSC_IiEEEEPS5_SI_SI_NS9_4lessIiEEEE10hipError_tPvRmT0_T1_T2_T3_T4_T5_mmT6_P12ihipStream_tbEUlT_E_NS1_11comp_targetILNS1_3genE2ELNS1_11target_archE906ELNS1_3gpuE6ELNS1_3repE0EEENS1_30default_config_static_selectorELNS0_4arch9wavefront6targetE0EEEvSP_.has_indirect_call, 0
	.section	.AMDGPU.csdata,"",@progbits
; Kernel info:
; codeLenInByte = 0
; TotalNumSgprs: 0
; NumVgprs: 0
; ScratchSize: 0
; MemoryBound: 0
; FloatMode: 240
; IeeeMode: 1
; LDSByteSize: 0 bytes/workgroup (compile time only)
; SGPRBlocks: 0
; VGPRBlocks: 0
; NumSGPRsForWavesPerEU: 1
; NumVGPRsForWavesPerEU: 1
; NamedBarCnt: 0
; Occupancy: 16
; WaveLimiterHint : 0
; COMPUTE_PGM_RSRC2:SCRATCH_EN: 0
; COMPUTE_PGM_RSRC2:USER_SGPR: 2
; COMPUTE_PGM_RSRC2:TRAP_HANDLER: 0
; COMPUTE_PGM_RSRC2:TGID_X_EN: 1
; COMPUTE_PGM_RSRC2:TGID_Y_EN: 0
; COMPUTE_PGM_RSRC2:TGID_Z_EN: 0
; COMPUTE_PGM_RSRC2:TIDIG_COMP_CNT: 0
	.section	.text._ZN7rocprim17ROCPRIM_400000_NS6detail17trampoline_kernelINS0_14default_configENS1_21merge_config_selectorIiNS0_10empty_typeEEEZNS1_10merge_implIS3_N6thrust23THRUST_200600_302600_NS6detail15normal_iteratorINS9_10device_ptrIKiEEEESF_NSB_INSC_IiEEEEPS5_SI_SI_NS9_4lessIiEEEE10hipError_tPvRmT0_T1_T2_T3_T4_T5_mmT6_P12ihipStream_tbEUlT_E_NS1_11comp_targetILNS1_3genE10ELNS1_11target_archE1201ELNS1_3gpuE5ELNS1_3repE0EEENS1_30default_config_static_selectorELNS0_4arch9wavefront6targetE0EEEvSP_,"axG",@progbits,_ZN7rocprim17ROCPRIM_400000_NS6detail17trampoline_kernelINS0_14default_configENS1_21merge_config_selectorIiNS0_10empty_typeEEEZNS1_10merge_implIS3_N6thrust23THRUST_200600_302600_NS6detail15normal_iteratorINS9_10device_ptrIKiEEEESF_NSB_INSC_IiEEEEPS5_SI_SI_NS9_4lessIiEEEE10hipError_tPvRmT0_T1_T2_T3_T4_T5_mmT6_P12ihipStream_tbEUlT_E_NS1_11comp_targetILNS1_3genE10ELNS1_11target_archE1201ELNS1_3gpuE5ELNS1_3repE0EEENS1_30default_config_static_selectorELNS0_4arch9wavefront6targetE0EEEvSP_,comdat
	.protected	_ZN7rocprim17ROCPRIM_400000_NS6detail17trampoline_kernelINS0_14default_configENS1_21merge_config_selectorIiNS0_10empty_typeEEEZNS1_10merge_implIS3_N6thrust23THRUST_200600_302600_NS6detail15normal_iteratorINS9_10device_ptrIKiEEEESF_NSB_INSC_IiEEEEPS5_SI_SI_NS9_4lessIiEEEE10hipError_tPvRmT0_T1_T2_T3_T4_T5_mmT6_P12ihipStream_tbEUlT_E_NS1_11comp_targetILNS1_3genE10ELNS1_11target_archE1201ELNS1_3gpuE5ELNS1_3repE0EEENS1_30default_config_static_selectorELNS0_4arch9wavefront6targetE0EEEvSP_ ; -- Begin function _ZN7rocprim17ROCPRIM_400000_NS6detail17trampoline_kernelINS0_14default_configENS1_21merge_config_selectorIiNS0_10empty_typeEEEZNS1_10merge_implIS3_N6thrust23THRUST_200600_302600_NS6detail15normal_iteratorINS9_10device_ptrIKiEEEESF_NSB_INSC_IiEEEEPS5_SI_SI_NS9_4lessIiEEEE10hipError_tPvRmT0_T1_T2_T3_T4_T5_mmT6_P12ihipStream_tbEUlT_E_NS1_11comp_targetILNS1_3genE10ELNS1_11target_archE1201ELNS1_3gpuE5ELNS1_3repE0EEENS1_30default_config_static_selectorELNS0_4arch9wavefront6targetE0EEEvSP_
	.globl	_ZN7rocprim17ROCPRIM_400000_NS6detail17trampoline_kernelINS0_14default_configENS1_21merge_config_selectorIiNS0_10empty_typeEEEZNS1_10merge_implIS3_N6thrust23THRUST_200600_302600_NS6detail15normal_iteratorINS9_10device_ptrIKiEEEESF_NSB_INSC_IiEEEEPS5_SI_SI_NS9_4lessIiEEEE10hipError_tPvRmT0_T1_T2_T3_T4_T5_mmT6_P12ihipStream_tbEUlT_E_NS1_11comp_targetILNS1_3genE10ELNS1_11target_archE1201ELNS1_3gpuE5ELNS1_3repE0EEENS1_30default_config_static_selectorELNS0_4arch9wavefront6targetE0EEEvSP_
	.p2align	8
	.type	_ZN7rocprim17ROCPRIM_400000_NS6detail17trampoline_kernelINS0_14default_configENS1_21merge_config_selectorIiNS0_10empty_typeEEEZNS1_10merge_implIS3_N6thrust23THRUST_200600_302600_NS6detail15normal_iteratorINS9_10device_ptrIKiEEEESF_NSB_INSC_IiEEEEPS5_SI_SI_NS9_4lessIiEEEE10hipError_tPvRmT0_T1_T2_T3_T4_T5_mmT6_P12ihipStream_tbEUlT_E_NS1_11comp_targetILNS1_3genE10ELNS1_11target_archE1201ELNS1_3gpuE5ELNS1_3repE0EEENS1_30default_config_static_selectorELNS0_4arch9wavefront6targetE0EEEvSP_,@function
_ZN7rocprim17ROCPRIM_400000_NS6detail17trampoline_kernelINS0_14default_configENS1_21merge_config_selectorIiNS0_10empty_typeEEEZNS1_10merge_implIS3_N6thrust23THRUST_200600_302600_NS6detail15normal_iteratorINS9_10device_ptrIKiEEEESF_NSB_INSC_IiEEEEPS5_SI_SI_NS9_4lessIiEEEE10hipError_tPvRmT0_T1_T2_T3_T4_T5_mmT6_P12ihipStream_tbEUlT_E_NS1_11comp_targetILNS1_3genE10ELNS1_11target_archE1201ELNS1_3gpuE5ELNS1_3repE0EEENS1_30default_config_static_selectorELNS0_4arch9wavefront6targetE0EEEvSP_: ; @_ZN7rocprim17ROCPRIM_400000_NS6detail17trampoline_kernelINS0_14default_configENS1_21merge_config_selectorIiNS0_10empty_typeEEEZNS1_10merge_implIS3_N6thrust23THRUST_200600_302600_NS6detail15normal_iteratorINS9_10device_ptrIKiEEEESF_NSB_INSC_IiEEEEPS5_SI_SI_NS9_4lessIiEEEE10hipError_tPvRmT0_T1_T2_T3_T4_T5_mmT6_P12ihipStream_tbEUlT_E_NS1_11comp_targetILNS1_3genE10ELNS1_11target_archE1201ELNS1_3gpuE5ELNS1_3repE0EEENS1_30default_config_static_selectorELNS0_4arch9wavefront6targetE0EEEvSP_
; %bb.0:
	.section	.rodata,"a",@progbits
	.p2align	6, 0x0
	.amdhsa_kernel _ZN7rocprim17ROCPRIM_400000_NS6detail17trampoline_kernelINS0_14default_configENS1_21merge_config_selectorIiNS0_10empty_typeEEEZNS1_10merge_implIS3_N6thrust23THRUST_200600_302600_NS6detail15normal_iteratorINS9_10device_ptrIKiEEEESF_NSB_INSC_IiEEEEPS5_SI_SI_NS9_4lessIiEEEE10hipError_tPvRmT0_T1_T2_T3_T4_T5_mmT6_P12ihipStream_tbEUlT_E_NS1_11comp_targetILNS1_3genE10ELNS1_11target_archE1201ELNS1_3gpuE5ELNS1_3repE0EEENS1_30default_config_static_selectorELNS0_4arch9wavefront6targetE0EEEvSP_
		.amdhsa_group_segment_fixed_size 0
		.amdhsa_private_segment_fixed_size 0
		.amdhsa_kernarg_size 48
		.amdhsa_user_sgpr_count 2
		.amdhsa_user_sgpr_dispatch_ptr 0
		.amdhsa_user_sgpr_queue_ptr 0
		.amdhsa_user_sgpr_kernarg_segment_ptr 1
		.amdhsa_user_sgpr_dispatch_id 0
		.amdhsa_user_sgpr_kernarg_preload_length 0
		.amdhsa_user_sgpr_kernarg_preload_offset 0
		.amdhsa_user_sgpr_private_segment_size 0
		.amdhsa_wavefront_size32 1
		.amdhsa_uses_dynamic_stack 0
		.amdhsa_enable_private_segment 0
		.amdhsa_system_sgpr_workgroup_id_x 1
		.amdhsa_system_sgpr_workgroup_id_y 0
		.amdhsa_system_sgpr_workgroup_id_z 0
		.amdhsa_system_sgpr_workgroup_info 0
		.amdhsa_system_vgpr_workitem_id 0
		.amdhsa_next_free_vgpr 1
		.amdhsa_next_free_sgpr 1
		.amdhsa_named_barrier_count 0
		.amdhsa_reserve_vcc 0
		.amdhsa_float_round_mode_32 0
		.amdhsa_float_round_mode_16_64 0
		.amdhsa_float_denorm_mode_32 3
		.amdhsa_float_denorm_mode_16_64 3
		.amdhsa_fp16_overflow 0
		.amdhsa_memory_ordered 1
		.amdhsa_forward_progress 1
		.amdhsa_inst_pref_size 0
		.amdhsa_round_robin_scheduling 0
		.amdhsa_exception_fp_ieee_invalid_op 0
		.amdhsa_exception_fp_denorm_src 0
		.amdhsa_exception_fp_ieee_div_zero 0
		.amdhsa_exception_fp_ieee_overflow 0
		.amdhsa_exception_fp_ieee_underflow 0
		.amdhsa_exception_fp_ieee_inexact 0
		.amdhsa_exception_int_div_zero 0
	.end_amdhsa_kernel
	.section	.text._ZN7rocprim17ROCPRIM_400000_NS6detail17trampoline_kernelINS0_14default_configENS1_21merge_config_selectorIiNS0_10empty_typeEEEZNS1_10merge_implIS3_N6thrust23THRUST_200600_302600_NS6detail15normal_iteratorINS9_10device_ptrIKiEEEESF_NSB_INSC_IiEEEEPS5_SI_SI_NS9_4lessIiEEEE10hipError_tPvRmT0_T1_T2_T3_T4_T5_mmT6_P12ihipStream_tbEUlT_E_NS1_11comp_targetILNS1_3genE10ELNS1_11target_archE1201ELNS1_3gpuE5ELNS1_3repE0EEENS1_30default_config_static_selectorELNS0_4arch9wavefront6targetE0EEEvSP_,"axG",@progbits,_ZN7rocprim17ROCPRIM_400000_NS6detail17trampoline_kernelINS0_14default_configENS1_21merge_config_selectorIiNS0_10empty_typeEEEZNS1_10merge_implIS3_N6thrust23THRUST_200600_302600_NS6detail15normal_iteratorINS9_10device_ptrIKiEEEESF_NSB_INSC_IiEEEEPS5_SI_SI_NS9_4lessIiEEEE10hipError_tPvRmT0_T1_T2_T3_T4_T5_mmT6_P12ihipStream_tbEUlT_E_NS1_11comp_targetILNS1_3genE10ELNS1_11target_archE1201ELNS1_3gpuE5ELNS1_3repE0EEENS1_30default_config_static_selectorELNS0_4arch9wavefront6targetE0EEEvSP_,comdat
.Lfunc_end6:
	.size	_ZN7rocprim17ROCPRIM_400000_NS6detail17trampoline_kernelINS0_14default_configENS1_21merge_config_selectorIiNS0_10empty_typeEEEZNS1_10merge_implIS3_N6thrust23THRUST_200600_302600_NS6detail15normal_iteratorINS9_10device_ptrIKiEEEESF_NSB_INSC_IiEEEEPS5_SI_SI_NS9_4lessIiEEEE10hipError_tPvRmT0_T1_T2_T3_T4_T5_mmT6_P12ihipStream_tbEUlT_E_NS1_11comp_targetILNS1_3genE10ELNS1_11target_archE1201ELNS1_3gpuE5ELNS1_3repE0EEENS1_30default_config_static_selectorELNS0_4arch9wavefront6targetE0EEEvSP_, .Lfunc_end6-_ZN7rocprim17ROCPRIM_400000_NS6detail17trampoline_kernelINS0_14default_configENS1_21merge_config_selectorIiNS0_10empty_typeEEEZNS1_10merge_implIS3_N6thrust23THRUST_200600_302600_NS6detail15normal_iteratorINS9_10device_ptrIKiEEEESF_NSB_INSC_IiEEEEPS5_SI_SI_NS9_4lessIiEEEE10hipError_tPvRmT0_T1_T2_T3_T4_T5_mmT6_P12ihipStream_tbEUlT_E_NS1_11comp_targetILNS1_3genE10ELNS1_11target_archE1201ELNS1_3gpuE5ELNS1_3repE0EEENS1_30default_config_static_selectorELNS0_4arch9wavefront6targetE0EEEvSP_
                                        ; -- End function
	.set _ZN7rocprim17ROCPRIM_400000_NS6detail17trampoline_kernelINS0_14default_configENS1_21merge_config_selectorIiNS0_10empty_typeEEEZNS1_10merge_implIS3_N6thrust23THRUST_200600_302600_NS6detail15normal_iteratorINS9_10device_ptrIKiEEEESF_NSB_INSC_IiEEEEPS5_SI_SI_NS9_4lessIiEEEE10hipError_tPvRmT0_T1_T2_T3_T4_T5_mmT6_P12ihipStream_tbEUlT_E_NS1_11comp_targetILNS1_3genE10ELNS1_11target_archE1201ELNS1_3gpuE5ELNS1_3repE0EEENS1_30default_config_static_selectorELNS0_4arch9wavefront6targetE0EEEvSP_.num_vgpr, 0
	.set _ZN7rocprim17ROCPRIM_400000_NS6detail17trampoline_kernelINS0_14default_configENS1_21merge_config_selectorIiNS0_10empty_typeEEEZNS1_10merge_implIS3_N6thrust23THRUST_200600_302600_NS6detail15normal_iteratorINS9_10device_ptrIKiEEEESF_NSB_INSC_IiEEEEPS5_SI_SI_NS9_4lessIiEEEE10hipError_tPvRmT0_T1_T2_T3_T4_T5_mmT6_P12ihipStream_tbEUlT_E_NS1_11comp_targetILNS1_3genE10ELNS1_11target_archE1201ELNS1_3gpuE5ELNS1_3repE0EEENS1_30default_config_static_selectorELNS0_4arch9wavefront6targetE0EEEvSP_.num_agpr, 0
	.set _ZN7rocprim17ROCPRIM_400000_NS6detail17trampoline_kernelINS0_14default_configENS1_21merge_config_selectorIiNS0_10empty_typeEEEZNS1_10merge_implIS3_N6thrust23THRUST_200600_302600_NS6detail15normal_iteratorINS9_10device_ptrIKiEEEESF_NSB_INSC_IiEEEEPS5_SI_SI_NS9_4lessIiEEEE10hipError_tPvRmT0_T1_T2_T3_T4_T5_mmT6_P12ihipStream_tbEUlT_E_NS1_11comp_targetILNS1_3genE10ELNS1_11target_archE1201ELNS1_3gpuE5ELNS1_3repE0EEENS1_30default_config_static_selectorELNS0_4arch9wavefront6targetE0EEEvSP_.numbered_sgpr, 0
	.set _ZN7rocprim17ROCPRIM_400000_NS6detail17trampoline_kernelINS0_14default_configENS1_21merge_config_selectorIiNS0_10empty_typeEEEZNS1_10merge_implIS3_N6thrust23THRUST_200600_302600_NS6detail15normal_iteratorINS9_10device_ptrIKiEEEESF_NSB_INSC_IiEEEEPS5_SI_SI_NS9_4lessIiEEEE10hipError_tPvRmT0_T1_T2_T3_T4_T5_mmT6_P12ihipStream_tbEUlT_E_NS1_11comp_targetILNS1_3genE10ELNS1_11target_archE1201ELNS1_3gpuE5ELNS1_3repE0EEENS1_30default_config_static_selectorELNS0_4arch9wavefront6targetE0EEEvSP_.num_named_barrier, 0
	.set _ZN7rocprim17ROCPRIM_400000_NS6detail17trampoline_kernelINS0_14default_configENS1_21merge_config_selectorIiNS0_10empty_typeEEEZNS1_10merge_implIS3_N6thrust23THRUST_200600_302600_NS6detail15normal_iteratorINS9_10device_ptrIKiEEEESF_NSB_INSC_IiEEEEPS5_SI_SI_NS9_4lessIiEEEE10hipError_tPvRmT0_T1_T2_T3_T4_T5_mmT6_P12ihipStream_tbEUlT_E_NS1_11comp_targetILNS1_3genE10ELNS1_11target_archE1201ELNS1_3gpuE5ELNS1_3repE0EEENS1_30default_config_static_selectorELNS0_4arch9wavefront6targetE0EEEvSP_.private_seg_size, 0
	.set _ZN7rocprim17ROCPRIM_400000_NS6detail17trampoline_kernelINS0_14default_configENS1_21merge_config_selectorIiNS0_10empty_typeEEEZNS1_10merge_implIS3_N6thrust23THRUST_200600_302600_NS6detail15normal_iteratorINS9_10device_ptrIKiEEEESF_NSB_INSC_IiEEEEPS5_SI_SI_NS9_4lessIiEEEE10hipError_tPvRmT0_T1_T2_T3_T4_T5_mmT6_P12ihipStream_tbEUlT_E_NS1_11comp_targetILNS1_3genE10ELNS1_11target_archE1201ELNS1_3gpuE5ELNS1_3repE0EEENS1_30default_config_static_selectorELNS0_4arch9wavefront6targetE0EEEvSP_.uses_vcc, 0
	.set _ZN7rocprim17ROCPRIM_400000_NS6detail17trampoline_kernelINS0_14default_configENS1_21merge_config_selectorIiNS0_10empty_typeEEEZNS1_10merge_implIS3_N6thrust23THRUST_200600_302600_NS6detail15normal_iteratorINS9_10device_ptrIKiEEEESF_NSB_INSC_IiEEEEPS5_SI_SI_NS9_4lessIiEEEE10hipError_tPvRmT0_T1_T2_T3_T4_T5_mmT6_P12ihipStream_tbEUlT_E_NS1_11comp_targetILNS1_3genE10ELNS1_11target_archE1201ELNS1_3gpuE5ELNS1_3repE0EEENS1_30default_config_static_selectorELNS0_4arch9wavefront6targetE0EEEvSP_.uses_flat_scratch, 0
	.set _ZN7rocprim17ROCPRIM_400000_NS6detail17trampoline_kernelINS0_14default_configENS1_21merge_config_selectorIiNS0_10empty_typeEEEZNS1_10merge_implIS3_N6thrust23THRUST_200600_302600_NS6detail15normal_iteratorINS9_10device_ptrIKiEEEESF_NSB_INSC_IiEEEEPS5_SI_SI_NS9_4lessIiEEEE10hipError_tPvRmT0_T1_T2_T3_T4_T5_mmT6_P12ihipStream_tbEUlT_E_NS1_11comp_targetILNS1_3genE10ELNS1_11target_archE1201ELNS1_3gpuE5ELNS1_3repE0EEENS1_30default_config_static_selectorELNS0_4arch9wavefront6targetE0EEEvSP_.has_dyn_sized_stack, 0
	.set _ZN7rocprim17ROCPRIM_400000_NS6detail17trampoline_kernelINS0_14default_configENS1_21merge_config_selectorIiNS0_10empty_typeEEEZNS1_10merge_implIS3_N6thrust23THRUST_200600_302600_NS6detail15normal_iteratorINS9_10device_ptrIKiEEEESF_NSB_INSC_IiEEEEPS5_SI_SI_NS9_4lessIiEEEE10hipError_tPvRmT0_T1_T2_T3_T4_T5_mmT6_P12ihipStream_tbEUlT_E_NS1_11comp_targetILNS1_3genE10ELNS1_11target_archE1201ELNS1_3gpuE5ELNS1_3repE0EEENS1_30default_config_static_selectorELNS0_4arch9wavefront6targetE0EEEvSP_.has_recursion, 0
	.set _ZN7rocprim17ROCPRIM_400000_NS6detail17trampoline_kernelINS0_14default_configENS1_21merge_config_selectorIiNS0_10empty_typeEEEZNS1_10merge_implIS3_N6thrust23THRUST_200600_302600_NS6detail15normal_iteratorINS9_10device_ptrIKiEEEESF_NSB_INSC_IiEEEEPS5_SI_SI_NS9_4lessIiEEEE10hipError_tPvRmT0_T1_T2_T3_T4_T5_mmT6_P12ihipStream_tbEUlT_E_NS1_11comp_targetILNS1_3genE10ELNS1_11target_archE1201ELNS1_3gpuE5ELNS1_3repE0EEENS1_30default_config_static_selectorELNS0_4arch9wavefront6targetE0EEEvSP_.has_indirect_call, 0
	.section	.AMDGPU.csdata,"",@progbits
; Kernel info:
; codeLenInByte = 0
; TotalNumSgprs: 0
; NumVgprs: 0
; ScratchSize: 0
; MemoryBound: 0
; FloatMode: 240
; IeeeMode: 1
; LDSByteSize: 0 bytes/workgroup (compile time only)
; SGPRBlocks: 0
; VGPRBlocks: 0
; NumSGPRsForWavesPerEU: 1
; NumVGPRsForWavesPerEU: 1
; NamedBarCnt: 0
; Occupancy: 16
; WaveLimiterHint : 0
; COMPUTE_PGM_RSRC2:SCRATCH_EN: 0
; COMPUTE_PGM_RSRC2:USER_SGPR: 2
; COMPUTE_PGM_RSRC2:TRAP_HANDLER: 0
; COMPUTE_PGM_RSRC2:TGID_X_EN: 1
; COMPUTE_PGM_RSRC2:TGID_Y_EN: 0
; COMPUTE_PGM_RSRC2:TGID_Z_EN: 0
; COMPUTE_PGM_RSRC2:TIDIG_COMP_CNT: 0
	.section	.text._ZN7rocprim17ROCPRIM_400000_NS6detail17trampoline_kernelINS0_14default_configENS1_21merge_config_selectorIiNS0_10empty_typeEEEZNS1_10merge_implIS3_N6thrust23THRUST_200600_302600_NS6detail15normal_iteratorINS9_10device_ptrIKiEEEESF_NSB_INSC_IiEEEEPS5_SI_SI_NS9_4lessIiEEEE10hipError_tPvRmT0_T1_T2_T3_T4_T5_mmT6_P12ihipStream_tbEUlT_E_NS1_11comp_targetILNS1_3genE10ELNS1_11target_archE1200ELNS1_3gpuE4ELNS1_3repE0EEENS1_30default_config_static_selectorELNS0_4arch9wavefront6targetE0EEEvSP_,"axG",@progbits,_ZN7rocprim17ROCPRIM_400000_NS6detail17trampoline_kernelINS0_14default_configENS1_21merge_config_selectorIiNS0_10empty_typeEEEZNS1_10merge_implIS3_N6thrust23THRUST_200600_302600_NS6detail15normal_iteratorINS9_10device_ptrIKiEEEESF_NSB_INSC_IiEEEEPS5_SI_SI_NS9_4lessIiEEEE10hipError_tPvRmT0_T1_T2_T3_T4_T5_mmT6_P12ihipStream_tbEUlT_E_NS1_11comp_targetILNS1_3genE10ELNS1_11target_archE1200ELNS1_3gpuE4ELNS1_3repE0EEENS1_30default_config_static_selectorELNS0_4arch9wavefront6targetE0EEEvSP_,comdat
	.protected	_ZN7rocprim17ROCPRIM_400000_NS6detail17trampoline_kernelINS0_14default_configENS1_21merge_config_selectorIiNS0_10empty_typeEEEZNS1_10merge_implIS3_N6thrust23THRUST_200600_302600_NS6detail15normal_iteratorINS9_10device_ptrIKiEEEESF_NSB_INSC_IiEEEEPS5_SI_SI_NS9_4lessIiEEEE10hipError_tPvRmT0_T1_T2_T3_T4_T5_mmT6_P12ihipStream_tbEUlT_E_NS1_11comp_targetILNS1_3genE10ELNS1_11target_archE1200ELNS1_3gpuE4ELNS1_3repE0EEENS1_30default_config_static_selectorELNS0_4arch9wavefront6targetE0EEEvSP_ ; -- Begin function _ZN7rocprim17ROCPRIM_400000_NS6detail17trampoline_kernelINS0_14default_configENS1_21merge_config_selectorIiNS0_10empty_typeEEEZNS1_10merge_implIS3_N6thrust23THRUST_200600_302600_NS6detail15normal_iteratorINS9_10device_ptrIKiEEEESF_NSB_INSC_IiEEEEPS5_SI_SI_NS9_4lessIiEEEE10hipError_tPvRmT0_T1_T2_T3_T4_T5_mmT6_P12ihipStream_tbEUlT_E_NS1_11comp_targetILNS1_3genE10ELNS1_11target_archE1200ELNS1_3gpuE4ELNS1_3repE0EEENS1_30default_config_static_selectorELNS0_4arch9wavefront6targetE0EEEvSP_
	.globl	_ZN7rocprim17ROCPRIM_400000_NS6detail17trampoline_kernelINS0_14default_configENS1_21merge_config_selectorIiNS0_10empty_typeEEEZNS1_10merge_implIS3_N6thrust23THRUST_200600_302600_NS6detail15normal_iteratorINS9_10device_ptrIKiEEEESF_NSB_INSC_IiEEEEPS5_SI_SI_NS9_4lessIiEEEE10hipError_tPvRmT0_T1_T2_T3_T4_T5_mmT6_P12ihipStream_tbEUlT_E_NS1_11comp_targetILNS1_3genE10ELNS1_11target_archE1200ELNS1_3gpuE4ELNS1_3repE0EEENS1_30default_config_static_selectorELNS0_4arch9wavefront6targetE0EEEvSP_
	.p2align	8
	.type	_ZN7rocprim17ROCPRIM_400000_NS6detail17trampoline_kernelINS0_14default_configENS1_21merge_config_selectorIiNS0_10empty_typeEEEZNS1_10merge_implIS3_N6thrust23THRUST_200600_302600_NS6detail15normal_iteratorINS9_10device_ptrIKiEEEESF_NSB_INSC_IiEEEEPS5_SI_SI_NS9_4lessIiEEEE10hipError_tPvRmT0_T1_T2_T3_T4_T5_mmT6_P12ihipStream_tbEUlT_E_NS1_11comp_targetILNS1_3genE10ELNS1_11target_archE1200ELNS1_3gpuE4ELNS1_3repE0EEENS1_30default_config_static_selectorELNS0_4arch9wavefront6targetE0EEEvSP_,@function
_ZN7rocprim17ROCPRIM_400000_NS6detail17trampoline_kernelINS0_14default_configENS1_21merge_config_selectorIiNS0_10empty_typeEEEZNS1_10merge_implIS3_N6thrust23THRUST_200600_302600_NS6detail15normal_iteratorINS9_10device_ptrIKiEEEESF_NSB_INSC_IiEEEEPS5_SI_SI_NS9_4lessIiEEEE10hipError_tPvRmT0_T1_T2_T3_T4_T5_mmT6_P12ihipStream_tbEUlT_E_NS1_11comp_targetILNS1_3genE10ELNS1_11target_archE1200ELNS1_3gpuE4ELNS1_3repE0EEENS1_30default_config_static_selectorELNS0_4arch9wavefront6targetE0EEEvSP_: ; @_ZN7rocprim17ROCPRIM_400000_NS6detail17trampoline_kernelINS0_14default_configENS1_21merge_config_selectorIiNS0_10empty_typeEEEZNS1_10merge_implIS3_N6thrust23THRUST_200600_302600_NS6detail15normal_iteratorINS9_10device_ptrIKiEEEESF_NSB_INSC_IiEEEEPS5_SI_SI_NS9_4lessIiEEEE10hipError_tPvRmT0_T1_T2_T3_T4_T5_mmT6_P12ihipStream_tbEUlT_E_NS1_11comp_targetILNS1_3genE10ELNS1_11target_archE1200ELNS1_3gpuE4ELNS1_3repE0EEENS1_30default_config_static_selectorELNS0_4arch9wavefront6targetE0EEEvSP_
; %bb.0:
	.section	.rodata,"a",@progbits
	.p2align	6, 0x0
	.amdhsa_kernel _ZN7rocprim17ROCPRIM_400000_NS6detail17trampoline_kernelINS0_14default_configENS1_21merge_config_selectorIiNS0_10empty_typeEEEZNS1_10merge_implIS3_N6thrust23THRUST_200600_302600_NS6detail15normal_iteratorINS9_10device_ptrIKiEEEESF_NSB_INSC_IiEEEEPS5_SI_SI_NS9_4lessIiEEEE10hipError_tPvRmT0_T1_T2_T3_T4_T5_mmT6_P12ihipStream_tbEUlT_E_NS1_11comp_targetILNS1_3genE10ELNS1_11target_archE1200ELNS1_3gpuE4ELNS1_3repE0EEENS1_30default_config_static_selectorELNS0_4arch9wavefront6targetE0EEEvSP_
		.amdhsa_group_segment_fixed_size 0
		.amdhsa_private_segment_fixed_size 0
		.amdhsa_kernarg_size 48
		.amdhsa_user_sgpr_count 2
		.amdhsa_user_sgpr_dispatch_ptr 0
		.amdhsa_user_sgpr_queue_ptr 0
		.amdhsa_user_sgpr_kernarg_segment_ptr 1
		.amdhsa_user_sgpr_dispatch_id 0
		.amdhsa_user_sgpr_kernarg_preload_length 0
		.amdhsa_user_sgpr_kernarg_preload_offset 0
		.amdhsa_user_sgpr_private_segment_size 0
		.amdhsa_wavefront_size32 1
		.amdhsa_uses_dynamic_stack 0
		.amdhsa_enable_private_segment 0
		.amdhsa_system_sgpr_workgroup_id_x 1
		.amdhsa_system_sgpr_workgroup_id_y 0
		.amdhsa_system_sgpr_workgroup_id_z 0
		.amdhsa_system_sgpr_workgroup_info 0
		.amdhsa_system_vgpr_workitem_id 0
		.amdhsa_next_free_vgpr 1
		.amdhsa_next_free_sgpr 1
		.amdhsa_named_barrier_count 0
		.amdhsa_reserve_vcc 0
		.amdhsa_float_round_mode_32 0
		.amdhsa_float_round_mode_16_64 0
		.amdhsa_float_denorm_mode_32 3
		.amdhsa_float_denorm_mode_16_64 3
		.amdhsa_fp16_overflow 0
		.amdhsa_memory_ordered 1
		.amdhsa_forward_progress 1
		.amdhsa_inst_pref_size 0
		.amdhsa_round_robin_scheduling 0
		.amdhsa_exception_fp_ieee_invalid_op 0
		.amdhsa_exception_fp_denorm_src 0
		.amdhsa_exception_fp_ieee_div_zero 0
		.amdhsa_exception_fp_ieee_overflow 0
		.amdhsa_exception_fp_ieee_underflow 0
		.amdhsa_exception_fp_ieee_inexact 0
		.amdhsa_exception_int_div_zero 0
	.end_amdhsa_kernel
	.section	.text._ZN7rocprim17ROCPRIM_400000_NS6detail17trampoline_kernelINS0_14default_configENS1_21merge_config_selectorIiNS0_10empty_typeEEEZNS1_10merge_implIS3_N6thrust23THRUST_200600_302600_NS6detail15normal_iteratorINS9_10device_ptrIKiEEEESF_NSB_INSC_IiEEEEPS5_SI_SI_NS9_4lessIiEEEE10hipError_tPvRmT0_T1_T2_T3_T4_T5_mmT6_P12ihipStream_tbEUlT_E_NS1_11comp_targetILNS1_3genE10ELNS1_11target_archE1200ELNS1_3gpuE4ELNS1_3repE0EEENS1_30default_config_static_selectorELNS0_4arch9wavefront6targetE0EEEvSP_,"axG",@progbits,_ZN7rocprim17ROCPRIM_400000_NS6detail17trampoline_kernelINS0_14default_configENS1_21merge_config_selectorIiNS0_10empty_typeEEEZNS1_10merge_implIS3_N6thrust23THRUST_200600_302600_NS6detail15normal_iteratorINS9_10device_ptrIKiEEEESF_NSB_INSC_IiEEEEPS5_SI_SI_NS9_4lessIiEEEE10hipError_tPvRmT0_T1_T2_T3_T4_T5_mmT6_P12ihipStream_tbEUlT_E_NS1_11comp_targetILNS1_3genE10ELNS1_11target_archE1200ELNS1_3gpuE4ELNS1_3repE0EEENS1_30default_config_static_selectorELNS0_4arch9wavefront6targetE0EEEvSP_,comdat
.Lfunc_end7:
	.size	_ZN7rocprim17ROCPRIM_400000_NS6detail17trampoline_kernelINS0_14default_configENS1_21merge_config_selectorIiNS0_10empty_typeEEEZNS1_10merge_implIS3_N6thrust23THRUST_200600_302600_NS6detail15normal_iteratorINS9_10device_ptrIKiEEEESF_NSB_INSC_IiEEEEPS5_SI_SI_NS9_4lessIiEEEE10hipError_tPvRmT0_T1_T2_T3_T4_T5_mmT6_P12ihipStream_tbEUlT_E_NS1_11comp_targetILNS1_3genE10ELNS1_11target_archE1200ELNS1_3gpuE4ELNS1_3repE0EEENS1_30default_config_static_selectorELNS0_4arch9wavefront6targetE0EEEvSP_, .Lfunc_end7-_ZN7rocprim17ROCPRIM_400000_NS6detail17trampoline_kernelINS0_14default_configENS1_21merge_config_selectorIiNS0_10empty_typeEEEZNS1_10merge_implIS3_N6thrust23THRUST_200600_302600_NS6detail15normal_iteratorINS9_10device_ptrIKiEEEESF_NSB_INSC_IiEEEEPS5_SI_SI_NS9_4lessIiEEEE10hipError_tPvRmT0_T1_T2_T3_T4_T5_mmT6_P12ihipStream_tbEUlT_E_NS1_11comp_targetILNS1_3genE10ELNS1_11target_archE1200ELNS1_3gpuE4ELNS1_3repE0EEENS1_30default_config_static_selectorELNS0_4arch9wavefront6targetE0EEEvSP_
                                        ; -- End function
	.set _ZN7rocprim17ROCPRIM_400000_NS6detail17trampoline_kernelINS0_14default_configENS1_21merge_config_selectorIiNS0_10empty_typeEEEZNS1_10merge_implIS3_N6thrust23THRUST_200600_302600_NS6detail15normal_iteratorINS9_10device_ptrIKiEEEESF_NSB_INSC_IiEEEEPS5_SI_SI_NS9_4lessIiEEEE10hipError_tPvRmT0_T1_T2_T3_T4_T5_mmT6_P12ihipStream_tbEUlT_E_NS1_11comp_targetILNS1_3genE10ELNS1_11target_archE1200ELNS1_3gpuE4ELNS1_3repE0EEENS1_30default_config_static_selectorELNS0_4arch9wavefront6targetE0EEEvSP_.num_vgpr, 0
	.set _ZN7rocprim17ROCPRIM_400000_NS6detail17trampoline_kernelINS0_14default_configENS1_21merge_config_selectorIiNS0_10empty_typeEEEZNS1_10merge_implIS3_N6thrust23THRUST_200600_302600_NS6detail15normal_iteratorINS9_10device_ptrIKiEEEESF_NSB_INSC_IiEEEEPS5_SI_SI_NS9_4lessIiEEEE10hipError_tPvRmT0_T1_T2_T3_T4_T5_mmT6_P12ihipStream_tbEUlT_E_NS1_11comp_targetILNS1_3genE10ELNS1_11target_archE1200ELNS1_3gpuE4ELNS1_3repE0EEENS1_30default_config_static_selectorELNS0_4arch9wavefront6targetE0EEEvSP_.num_agpr, 0
	.set _ZN7rocprim17ROCPRIM_400000_NS6detail17trampoline_kernelINS0_14default_configENS1_21merge_config_selectorIiNS0_10empty_typeEEEZNS1_10merge_implIS3_N6thrust23THRUST_200600_302600_NS6detail15normal_iteratorINS9_10device_ptrIKiEEEESF_NSB_INSC_IiEEEEPS5_SI_SI_NS9_4lessIiEEEE10hipError_tPvRmT0_T1_T2_T3_T4_T5_mmT6_P12ihipStream_tbEUlT_E_NS1_11comp_targetILNS1_3genE10ELNS1_11target_archE1200ELNS1_3gpuE4ELNS1_3repE0EEENS1_30default_config_static_selectorELNS0_4arch9wavefront6targetE0EEEvSP_.numbered_sgpr, 0
	.set _ZN7rocprim17ROCPRIM_400000_NS6detail17trampoline_kernelINS0_14default_configENS1_21merge_config_selectorIiNS0_10empty_typeEEEZNS1_10merge_implIS3_N6thrust23THRUST_200600_302600_NS6detail15normal_iteratorINS9_10device_ptrIKiEEEESF_NSB_INSC_IiEEEEPS5_SI_SI_NS9_4lessIiEEEE10hipError_tPvRmT0_T1_T2_T3_T4_T5_mmT6_P12ihipStream_tbEUlT_E_NS1_11comp_targetILNS1_3genE10ELNS1_11target_archE1200ELNS1_3gpuE4ELNS1_3repE0EEENS1_30default_config_static_selectorELNS0_4arch9wavefront6targetE0EEEvSP_.num_named_barrier, 0
	.set _ZN7rocprim17ROCPRIM_400000_NS6detail17trampoline_kernelINS0_14default_configENS1_21merge_config_selectorIiNS0_10empty_typeEEEZNS1_10merge_implIS3_N6thrust23THRUST_200600_302600_NS6detail15normal_iteratorINS9_10device_ptrIKiEEEESF_NSB_INSC_IiEEEEPS5_SI_SI_NS9_4lessIiEEEE10hipError_tPvRmT0_T1_T2_T3_T4_T5_mmT6_P12ihipStream_tbEUlT_E_NS1_11comp_targetILNS1_3genE10ELNS1_11target_archE1200ELNS1_3gpuE4ELNS1_3repE0EEENS1_30default_config_static_selectorELNS0_4arch9wavefront6targetE0EEEvSP_.private_seg_size, 0
	.set _ZN7rocprim17ROCPRIM_400000_NS6detail17trampoline_kernelINS0_14default_configENS1_21merge_config_selectorIiNS0_10empty_typeEEEZNS1_10merge_implIS3_N6thrust23THRUST_200600_302600_NS6detail15normal_iteratorINS9_10device_ptrIKiEEEESF_NSB_INSC_IiEEEEPS5_SI_SI_NS9_4lessIiEEEE10hipError_tPvRmT0_T1_T2_T3_T4_T5_mmT6_P12ihipStream_tbEUlT_E_NS1_11comp_targetILNS1_3genE10ELNS1_11target_archE1200ELNS1_3gpuE4ELNS1_3repE0EEENS1_30default_config_static_selectorELNS0_4arch9wavefront6targetE0EEEvSP_.uses_vcc, 0
	.set _ZN7rocprim17ROCPRIM_400000_NS6detail17trampoline_kernelINS0_14default_configENS1_21merge_config_selectorIiNS0_10empty_typeEEEZNS1_10merge_implIS3_N6thrust23THRUST_200600_302600_NS6detail15normal_iteratorINS9_10device_ptrIKiEEEESF_NSB_INSC_IiEEEEPS5_SI_SI_NS9_4lessIiEEEE10hipError_tPvRmT0_T1_T2_T3_T4_T5_mmT6_P12ihipStream_tbEUlT_E_NS1_11comp_targetILNS1_3genE10ELNS1_11target_archE1200ELNS1_3gpuE4ELNS1_3repE0EEENS1_30default_config_static_selectorELNS0_4arch9wavefront6targetE0EEEvSP_.uses_flat_scratch, 0
	.set _ZN7rocprim17ROCPRIM_400000_NS6detail17trampoline_kernelINS0_14default_configENS1_21merge_config_selectorIiNS0_10empty_typeEEEZNS1_10merge_implIS3_N6thrust23THRUST_200600_302600_NS6detail15normal_iteratorINS9_10device_ptrIKiEEEESF_NSB_INSC_IiEEEEPS5_SI_SI_NS9_4lessIiEEEE10hipError_tPvRmT0_T1_T2_T3_T4_T5_mmT6_P12ihipStream_tbEUlT_E_NS1_11comp_targetILNS1_3genE10ELNS1_11target_archE1200ELNS1_3gpuE4ELNS1_3repE0EEENS1_30default_config_static_selectorELNS0_4arch9wavefront6targetE0EEEvSP_.has_dyn_sized_stack, 0
	.set _ZN7rocprim17ROCPRIM_400000_NS6detail17trampoline_kernelINS0_14default_configENS1_21merge_config_selectorIiNS0_10empty_typeEEEZNS1_10merge_implIS3_N6thrust23THRUST_200600_302600_NS6detail15normal_iteratorINS9_10device_ptrIKiEEEESF_NSB_INSC_IiEEEEPS5_SI_SI_NS9_4lessIiEEEE10hipError_tPvRmT0_T1_T2_T3_T4_T5_mmT6_P12ihipStream_tbEUlT_E_NS1_11comp_targetILNS1_3genE10ELNS1_11target_archE1200ELNS1_3gpuE4ELNS1_3repE0EEENS1_30default_config_static_selectorELNS0_4arch9wavefront6targetE0EEEvSP_.has_recursion, 0
	.set _ZN7rocprim17ROCPRIM_400000_NS6detail17trampoline_kernelINS0_14default_configENS1_21merge_config_selectorIiNS0_10empty_typeEEEZNS1_10merge_implIS3_N6thrust23THRUST_200600_302600_NS6detail15normal_iteratorINS9_10device_ptrIKiEEEESF_NSB_INSC_IiEEEEPS5_SI_SI_NS9_4lessIiEEEE10hipError_tPvRmT0_T1_T2_T3_T4_T5_mmT6_P12ihipStream_tbEUlT_E_NS1_11comp_targetILNS1_3genE10ELNS1_11target_archE1200ELNS1_3gpuE4ELNS1_3repE0EEENS1_30default_config_static_selectorELNS0_4arch9wavefront6targetE0EEEvSP_.has_indirect_call, 0
	.section	.AMDGPU.csdata,"",@progbits
; Kernel info:
; codeLenInByte = 0
; TotalNumSgprs: 0
; NumVgprs: 0
; ScratchSize: 0
; MemoryBound: 0
; FloatMode: 240
; IeeeMode: 1
; LDSByteSize: 0 bytes/workgroup (compile time only)
; SGPRBlocks: 0
; VGPRBlocks: 0
; NumSGPRsForWavesPerEU: 1
; NumVGPRsForWavesPerEU: 1
; NamedBarCnt: 0
; Occupancy: 16
; WaveLimiterHint : 0
; COMPUTE_PGM_RSRC2:SCRATCH_EN: 0
; COMPUTE_PGM_RSRC2:USER_SGPR: 2
; COMPUTE_PGM_RSRC2:TRAP_HANDLER: 0
; COMPUTE_PGM_RSRC2:TGID_X_EN: 1
; COMPUTE_PGM_RSRC2:TGID_Y_EN: 0
; COMPUTE_PGM_RSRC2:TGID_Z_EN: 0
; COMPUTE_PGM_RSRC2:TIDIG_COMP_CNT: 0
	.section	.text._ZN7rocprim17ROCPRIM_400000_NS6detail17trampoline_kernelINS0_14default_configENS1_21merge_config_selectorIiNS0_10empty_typeEEEZNS1_10merge_implIS3_N6thrust23THRUST_200600_302600_NS6detail15normal_iteratorINS9_10device_ptrIKiEEEESF_NSB_INSC_IiEEEEPS5_SI_SI_NS9_4lessIiEEEE10hipError_tPvRmT0_T1_T2_T3_T4_T5_mmT6_P12ihipStream_tbEUlT_E_NS1_11comp_targetILNS1_3genE9ELNS1_11target_archE1100ELNS1_3gpuE3ELNS1_3repE0EEENS1_30default_config_static_selectorELNS0_4arch9wavefront6targetE0EEEvSP_,"axG",@progbits,_ZN7rocprim17ROCPRIM_400000_NS6detail17trampoline_kernelINS0_14default_configENS1_21merge_config_selectorIiNS0_10empty_typeEEEZNS1_10merge_implIS3_N6thrust23THRUST_200600_302600_NS6detail15normal_iteratorINS9_10device_ptrIKiEEEESF_NSB_INSC_IiEEEEPS5_SI_SI_NS9_4lessIiEEEE10hipError_tPvRmT0_T1_T2_T3_T4_T5_mmT6_P12ihipStream_tbEUlT_E_NS1_11comp_targetILNS1_3genE9ELNS1_11target_archE1100ELNS1_3gpuE3ELNS1_3repE0EEENS1_30default_config_static_selectorELNS0_4arch9wavefront6targetE0EEEvSP_,comdat
	.protected	_ZN7rocprim17ROCPRIM_400000_NS6detail17trampoline_kernelINS0_14default_configENS1_21merge_config_selectorIiNS0_10empty_typeEEEZNS1_10merge_implIS3_N6thrust23THRUST_200600_302600_NS6detail15normal_iteratorINS9_10device_ptrIKiEEEESF_NSB_INSC_IiEEEEPS5_SI_SI_NS9_4lessIiEEEE10hipError_tPvRmT0_T1_T2_T3_T4_T5_mmT6_P12ihipStream_tbEUlT_E_NS1_11comp_targetILNS1_3genE9ELNS1_11target_archE1100ELNS1_3gpuE3ELNS1_3repE0EEENS1_30default_config_static_selectorELNS0_4arch9wavefront6targetE0EEEvSP_ ; -- Begin function _ZN7rocprim17ROCPRIM_400000_NS6detail17trampoline_kernelINS0_14default_configENS1_21merge_config_selectorIiNS0_10empty_typeEEEZNS1_10merge_implIS3_N6thrust23THRUST_200600_302600_NS6detail15normal_iteratorINS9_10device_ptrIKiEEEESF_NSB_INSC_IiEEEEPS5_SI_SI_NS9_4lessIiEEEE10hipError_tPvRmT0_T1_T2_T3_T4_T5_mmT6_P12ihipStream_tbEUlT_E_NS1_11comp_targetILNS1_3genE9ELNS1_11target_archE1100ELNS1_3gpuE3ELNS1_3repE0EEENS1_30default_config_static_selectorELNS0_4arch9wavefront6targetE0EEEvSP_
	.globl	_ZN7rocprim17ROCPRIM_400000_NS6detail17trampoline_kernelINS0_14default_configENS1_21merge_config_selectorIiNS0_10empty_typeEEEZNS1_10merge_implIS3_N6thrust23THRUST_200600_302600_NS6detail15normal_iteratorINS9_10device_ptrIKiEEEESF_NSB_INSC_IiEEEEPS5_SI_SI_NS9_4lessIiEEEE10hipError_tPvRmT0_T1_T2_T3_T4_T5_mmT6_P12ihipStream_tbEUlT_E_NS1_11comp_targetILNS1_3genE9ELNS1_11target_archE1100ELNS1_3gpuE3ELNS1_3repE0EEENS1_30default_config_static_selectorELNS0_4arch9wavefront6targetE0EEEvSP_
	.p2align	8
	.type	_ZN7rocprim17ROCPRIM_400000_NS6detail17trampoline_kernelINS0_14default_configENS1_21merge_config_selectorIiNS0_10empty_typeEEEZNS1_10merge_implIS3_N6thrust23THRUST_200600_302600_NS6detail15normal_iteratorINS9_10device_ptrIKiEEEESF_NSB_INSC_IiEEEEPS5_SI_SI_NS9_4lessIiEEEE10hipError_tPvRmT0_T1_T2_T3_T4_T5_mmT6_P12ihipStream_tbEUlT_E_NS1_11comp_targetILNS1_3genE9ELNS1_11target_archE1100ELNS1_3gpuE3ELNS1_3repE0EEENS1_30default_config_static_selectorELNS0_4arch9wavefront6targetE0EEEvSP_,@function
_ZN7rocprim17ROCPRIM_400000_NS6detail17trampoline_kernelINS0_14default_configENS1_21merge_config_selectorIiNS0_10empty_typeEEEZNS1_10merge_implIS3_N6thrust23THRUST_200600_302600_NS6detail15normal_iteratorINS9_10device_ptrIKiEEEESF_NSB_INSC_IiEEEEPS5_SI_SI_NS9_4lessIiEEEE10hipError_tPvRmT0_T1_T2_T3_T4_T5_mmT6_P12ihipStream_tbEUlT_E_NS1_11comp_targetILNS1_3genE9ELNS1_11target_archE1100ELNS1_3gpuE3ELNS1_3repE0EEENS1_30default_config_static_selectorELNS0_4arch9wavefront6targetE0EEEvSP_: ; @_ZN7rocprim17ROCPRIM_400000_NS6detail17trampoline_kernelINS0_14default_configENS1_21merge_config_selectorIiNS0_10empty_typeEEEZNS1_10merge_implIS3_N6thrust23THRUST_200600_302600_NS6detail15normal_iteratorINS9_10device_ptrIKiEEEESF_NSB_INSC_IiEEEEPS5_SI_SI_NS9_4lessIiEEEE10hipError_tPvRmT0_T1_T2_T3_T4_T5_mmT6_P12ihipStream_tbEUlT_E_NS1_11comp_targetILNS1_3genE9ELNS1_11target_archE1100ELNS1_3gpuE3ELNS1_3repE0EEENS1_30default_config_static_selectorELNS0_4arch9wavefront6targetE0EEEvSP_
; %bb.0:
	.section	.rodata,"a",@progbits
	.p2align	6, 0x0
	.amdhsa_kernel _ZN7rocprim17ROCPRIM_400000_NS6detail17trampoline_kernelINS0_14default_configENS1_21merge_config_selectorIiNS0_10empty_typeEEEZNS1_10merge_implIS3_N6thrust23THRUST_200600_302600_NS6detail15normal_iteratorINS9_10device_ptrIKiEEEESF_NSB_INSC_IiEEEEPS5_SI_SI_NS9_4lessIiEEEE10hipError_tPvRmT0_T1_T2_T3_T4_T5_mmT6_P12ihipStream_tbEUlT_E_NS1_11comp_targetILNS1_3genE9ELNS1_11target_archE1100ELNS1_3gpuE3ELNS1_3repE0EEENS1_30default_config_static_selectorELNS0_4arch9wavefront6targetE0EEEvSP_
		.amdhsa_group_segment_fixed_size 0
		.amdhsa_private_segment_fixed_size 0
		.amdhsa_kernarg_size 48
		.amdhsa_user_sgpr_count 2
		.amdhsa_user_sgpr_dispatch_ptr 0
		.amdhsa_user_sgpr_queue_ptr 0
		.amdhsa_user_sgpr_kernarg_segment_ptr 1
		.amdhsa_user_sgpr_dispatch_id 0
		.amdhsa_user_sgpr_kernarg_preload_length 0
		.amdhsa_user_sgpr_kernarg_preload_offset 0
		.amdhsa_user_sgpr_private_segment_size 0
		.amdhsa_wavefront_size32 1
		.amdhsa_uses_dynamic_stack 0
		.amdhsa_enable_private_segment 0
		.amdhsa_system_sgpr_workgroup_id_x 1
		.amdhsa_system_sgpr_workgroup_id_y 0
		.amdhsa_system_sgpr_workgroup_id_z 0
		.amdhsa_system_sgpr_workgroup_info 0
		.amdhsa_system_vgpr_workitem_id 0
		.amdhsa_next_free_vgpr 1
		.amdhsa_next_free_sgpr 1
		.amdhsa_named_barrier_count 0
		.amdhsa_reserve_vcc 0
		.amdhsa_float_round_mode_32 0
		.amdhsa_float_round_mode_16_64 0
		.amdhsa_float_denorm_mode_32 3
		.amdhsa_float_denorm_mode_16_64 3
		.amdhsa_fp16_overflow 0
		.amdhsa_memory_ordered 1
		.amdhsa_forward_progress 1
		.amdhsa_inst_pref_size 0
		.amdhsa_round_robin_scheduling 0
		.amdhsa_exception_fp_ieee_invalid_op 0
		.amdhsa_exception_fp_denorm_src 0
		.amdhsa_exception_fp_ieee_div_zero 0
		.amdhsa_exception_fp_ieee_overflow 0
		.amdhsa_exception_fp_ieee_underflow 0
		.amdhsa_exception_fp_ieee_inexact 0
		.amdhsa_exception_int_div_zero 0
	.end_amdhsa_kernel
	.section	.text._ZN7rocprim17ROCPRIM_400000_NS6detail17trampoline_kernelINS0_14default_configENS1_21merge_config_selectorIiNS0_10empty_typeEEEZNS1_10merge_implIS3_N6thrust23THRUST_200600_302600_NS6detail15normal_iteratorINS9_10device_ptrIKiEEEESF_NSB_INSC_IiEEEEPS5_SI_SI_NS9_4lessIiEEEE10hipError_tPvRmT0_T1_T2_T3_T4_T5_mmT6_P12ihipStream_tbEUlT_E_NS1_11comp_targetILNS1_3genE9ELNS1_11target_archE1100ELNS1_3gpuE3ELNS1_3repE0EEENS1_30default_config_static_selectorELNS0_4arch9wavefront6targetE0EEEvSP_,"axG",@progbits,_ZN7rocprim17ROCPRIM_400000_NS6detail17trampoline_kernelINS0_14default_configENS1_21merge_config_selectorIiNS0_10empty_typeEEEZNS1_10merge_implIS3_N6thrust23THRUST_200600_302600_NS6detail15normal_iteratorINS9_10device_ptrIKiEEEESF_NSB_INSC_IiEEEEPS5_SI_SI_NS9_4lessIiEEEE10hipError_tPvRmT0_T1_T2_T3_T4_T5_mmT6_P12ihipStream_tbEUlT_E_NS1_11comp_targetILNS1_3genE9ELNS1_11target_archE1100ELNS1_3gpuE3ELNS1_3repE0EEENS1_30default_config_static_selectorELNS0_4arch9wavefront6targetE0EEEvSP_,comdat
.Lfunc_end8:
	.size	_ZN7rocprim17ROCPRIM_400000_NS6detail17trampoline_kernelINS0_14default_configENS1_21merge_config_selectorIiNS0_10empty_typeEEEZNS1_10merge_implIS3_N6thrust23THRUST_200600_302600_NS6detail15normal_iteratorINS9_10device_ptrIKiEEEESF_NSB_INSC_IiEEEEPS5_SI_SI_NS9_4lessIiEEEE10hipError_tPvRmT0_T1_T2_T3_T4_T5_mmT6_P12ihipStream_tbEUlT_E_NS1_11comp_targetILNS1_3genE9ELNS1_11target_archE1100ELNS1_3gpuE3ELNS1_3repE0EEENS1_30default_config_static_selectorELNS0_4arch9wavefront6targetE0EEEvSP_, .Lfunc_end8-_ZN7rocprim17ROCPRIM_400000_NS6detail17trampoline_kernelINS0_14default_configENS1_21merge_config_selectorIiNS0_10empty_typeEEEZNS1_10merge_implIS3_N6thrust23THRUST_200600_302600_NS6detail15normal_iteratorINS9_10device_ptrIKiEEEESF_NSB_INSC_IiEEEEPS5_SI_SI_NS9_4lessIiEEEE10hipError_tPvRmT0_T1_T2_T3_T4_T5_mmT6_P12ihipStream_tbEUlT_E_NS1_11comp_targetILNS1_3genE9ELNS1_11target_archE1100ELNS1_3gpuE3ELNS1_3repE0EEENS1_30default_config_static_selectorELNS0_4arch9wavefront6targetE0EEEvSP_
                                        ; -- End function
	.set _ZN7rocprim17ROCPRIM_400000_NS6detail17trampoline_kernelINS0_14default_configENS1_21merge_config_selectorIiNS0_10empty_typeEEEZNS1_10merge_implIS3_N6thrust23THRUST_200600_302600_NS6detail15normal_iteratorINS9_10device_ptrIKiEEEESF_NSB_INSC_IiEEEEPS5_SI_SI_NS9_4lessIiEEEE10hipError_tPvRmT0_T1_T2_T3_T4_T5_mmT6_P12ihipStream_tbEUlT_E_NS1_11comp_targetILNS1_3genE9ELNS1_11target_archE1100ELNS1_3gpuE3ELNS1_3repE0EEENS1_30default_config_static_selectorELNS0_4arch9wavefront6targetE0EEEvSP_.num_vgpr, 0
	.set _ZN7rocprim17ROCPRIM_400000_NS6detail17trampoline_kernelINS0_14default_configENS1_21merge_config_selectorIiNS0_10empty_typeEEEZNS1_10merge_implIS3_N6thrust23THRUST_200600_302600_NS6detail15normal_iteratorINS9_10device_ptrIKiEEEESF_NSB_INSC_IiEEEEPS5_SI_SI_NS9_4lessIiEEEE10hipError_tPvRmT0_T1_T2_T3_T4_T5_mmT6_P12ihipStream_tbEUlT_E_NS1_11comp_targetILNS1_3genE9ELNS1_11target_archE1100ELNS1_3gpuE3ELNS1_3repE0EEENS1_30default_config_static_selectorELNS0_4arch9wavefront6targetE0EEEvSP_.num_agpr, 0
	.set _ZN7rocprim17ROCPRIM_400000_NS6detail17trampoline_kernelINS0_14default_configENS1_21merge_config_selectorIiNS0_10empty_typeEEEZNS1_10merge_implIS3_N6thrust23THRUST_200600_302600_NS6detail15normal_iteratorINS9_10device_ptrIKiEEEESF_NSB_INSC_IiEEEEPS5_SI_SI_NS9_4lessIiEEEE10hipError_tPvRmT0_T1_T2_T3_T4_T5_mmT6_P12ihipStream_tbEUlT_E_NS1_11comp_targetILNS1_3genE9ELNS1_11target_archE1100ELNS1_3gpuE3ELNS1_3repE0EEENS1_30default_config_static_selectorELNS0_4arch9wavefront6targetE0EEEvSP_.numbered_sgpr, 0
	.set _ZN7rocprim17ROCPRIM_400000_NS6detail17trampoline_kernelINS0_14default_configENS1_21merge_config_selectorIiNS0_10empty_typeEEEZNS1_10merge_implIS3_N6thrust23THRUST_200600_302600_NS6detail15normal_iteratorINS9_10device_ptrIKiEEEESF_NSB_INSC_IiEEEEPS5_SI_SI_NS9_4lessIiEEEE10hipError_tPvRmT0_T1_T2_T3_T4_T5_mmT6_P12ihipStream_tbEUlT_E_NS1_11comp_targetILNS1_3genE9ELNS1_11target_archE1100ELNS1_3gpuE3ELNS1_3repE0EEENS1_30default_config_static_selectorELNS0_4arch9wavefront6targetE0EEEvSP_.num_named_barrier, 0
	.set _ZN7rocprim17ROCPRIM_400000_NS6detail17trampoline_kernelINS0_14default_configENS1_21merge_config_selectorIiNS0_10empty_typeEEEZNS1_10merge_implIS3_N6thrust23THRUST_200600_302600_NS6detail15normal_iteratorINS9_10device_ptrIKiEEEESF_NSB_INSC_IiEEEEPS5_SI_SI_NS9_4lessIiEEEE10hipError_tPvRmT0_T1_T2_T3_T4_T5_mmT6_P12ihipStream_tbEUlT_E_NS1_11comp_targetILNS1_3genE9ELNS1_11target_archE1100ELNS1_3gpuE3ELNS1_3repE0EEENS1_30default_config_static_selectorELNS0_4arch9wavefront6targetE0EEEvSP_.private_seg_size, 0
	.set _ZN7rocprim17ROCPRIM_400000_NS6detail17trampoline_kernelINS0_14default_configENS1_21merge_config_selectorIiNS0_10empty_typeEEEZNS1_10merge_implIS3_N6thrust23THRUST_200600_302600_NS6detail15normal_iteratorINS9_10device_ptrIKiEEEESF_NSB_INSC_IiEEEEPS5_SI_SI_NS9_4lessIiEEEE10hipError_tPvRmT0_T1_T2_T3_T4_T5_mmT6_P12ihipStream_tbEUlT_E_NS1_11comp_targetILNS1_3genE9ELNS1_11target_archE1100ELNS1_3gpuE3ELNS1_3repE0EEENS1_30default_config_static_selectorELNS0_4arch9wavefront6targetE0EEEvSP_.uses_vcc, 0
	.set _ZN7rocprim17ROCPRIM_400000_NS6detail17trampoline_kernelINS0_14default_configENS1_21merge_config_selectorIiNS0_10empty_typeEEEZNS1_10merge_implIS3_N6thrust23THRUST_200600_302600_NS6detail15normal_iteratorINS9_10device_ptrIKiEEEESF_NSB_INSC_IiEEEEPS5_SI_SI_NS9_4lessIiEEEE10hipError_tPvRmT0_T1_T2_T3_T4_T5_mmT6_P12ihipStream_tbEUlT_E_NS1_11comp_targetILNS1_3genE9ELNS1_11target_archE1100ELNS1_3gpuE3ELNS1_3repE0EEENS1_30default_config_static_selectorELNS0_4arch9wavefront6targetE0EEEvSP_.uses_flat_scratch, 0
	.set _ZN7rocprim17ROCPRIM_400000_NS6detail17trampoline_kernelINS0_14default_configENS1_21merge_config_selectorIiNS0_10empty_typeEEEZNS1_10merge_implIS3_N6thrust23THRUST_200600_302600_NS6detail15normal_iteratorINS9_10device_ptrIKiEEEESF_NSB_INSC_IiEEEEPS5_SI_SI_NS9_4lessIiEEEE10hipError_tPvRmT0_T1_T2_T3_T4_T5_mmT6_P12ihipStream_tbEUlT_E_NS1_11comp_targetILNS1_3genE9ELNS1_11target_archE1100ELNS1_3gpuE3ELNS1_3repE0EEENS1_30default_config_static_selectorELNS0_4arch9wavefront6targetE0EEEvSP_.has_dyn_sized_stack, 0
	.set _ZN7rocprim17ROCPRIM_400000_NS6detail17trampoline_kernelINS0_14default_configENS1_21merge_config_selectorIiNS0_10empty_typeEEEZNS1_10merge_implIS3_N6thrust23THRUST_200600_302600_NS6detail15normal_iteratorINS9_10device_ptrIKiEEEESF_NSB_INSC_IiEEEEPS5_SI_SI_NS9_4lessIiEEEE10hipError_tPvRmT0_T1_T2_T3_T4_T5_mmT6_P12ihipStream_tbEUlT_E_NS1_11comp_targetILNS1_3genE9ELNS1_11target_archE1100ELNS1_3gpuE3ELNS1_3repE0EEENS1_30default_config_static_selectorELNS0_4arch9wavefront6targetE0EEEvSP_.has_recursion, 0
	.set _ZN7rocprim17ROCPRIM_400000_NS6detail17trampoline_kernelINS0_14default_configENS1_21merge_config_selectorIiNS0_10empty_typeEEEZNS1_10merge_implIS3_N6thrust23THRUST_200600_302600_NS6detail15normal_iteratorINS9_10device_ptrIKiEEEESF_NSB_INSC_IiEEEEPS5_SI_SI_NS9_4lessIiEEEE10hipError_tPvRmT0_T1_T2_T3_T4_T5_mmT6_P12ihipStream_tbEUlT_E_NS1_11comp_targetILNS1_3genE9ELNS1_11target_archE1100ELNS1_3gpuE3ELNS1_3repE0EEENS1_30default_config_static_selectorELNS0_4arch9wavefront6targetE0EEEvSP_.has_indirect_call, 0
	.section	.AMDGPU.csdata,"",@progbits
; Kernel info:
; codeLenInByte = 0
; TotalNumSgprs: 0
; NumVgprs: 0
; ScratchSize: 0
; MemoryBound: 0
; FloatMode: 240
; IeeeMode: 1
; LDSByteSize: 0 bytes/workgroup (compile time only)
; SGPRBlocks: 0
; VGPRBlocks: 0
; NumSGPRsForWavesPerEU: 1
; NumVGPRsForWavesPerEU: 1
; NamedBarCnt: 0
; Occupancy: 16
; WaveLimiterHint : 0
; COMPUTE_PGM_RSRC2:SCRATCH_EN: 0
; COMPUTE_PGM_RSRC2:USER_SGPR: 2
; COMPUTE_PGM_RSRC2:TRAP_HANDLER: 0
; COMPUTE_PGM_RSRC2:TGID_X_EN: 1
; COMPUTE_PGM_RSRC2:TGID_Y_EN: 0
; COMPUTE_PGM_RSRC2:TGID_Z_EN: 0
; COMPUTE_PGM_RSRC2:TIDIG_COMP_CNT: 0
	.section	.text._ZN7rocprim17ROCPRIM_400000_NS6detail17trampoline_kernelINS0_14default_configENS1_21merge_config_selectorIiNS0_10empty_typeEEEZNS1_10merge_implIS3_N6thrust23THRUST_200600_302600_NS6detail15normal_iteratorINS9_10device_ptrIKiEEEESF_NSB_INSC_IiEEEEPS5_SI_SI_NS9_4lessIiEEEE10hipError_tPvRmT0_T1_T2_T3_T4_T5_mmT6_P12ihipStream_tbEUlT_E_NS1_11comp_targetILNS1_3genE8ELNS1_11target_archE1030ELNS1_3gpuE2ELNS1_3repE0EEENS1_30default_config_static_selectorELNS0_4arch9wavefront6targetE0EEEvSP_,"axG",@progbits,_ZN7rocprim17ROCPRIM_400000_NS6detail17trampoline_kernelINS0_14default_configENS1_21merge_config_selectorIiNS0_10empty_typeEEEZNS1_10merge_implIS3_N6thrust23THRUST_200600_302600_NS6detail15normal_iteratorINS9_10device_ptrIKiEEEESF_NSB_INSC_IiEEEEPS5_SI_SI_NS9_4lessIiEEEE10hipError_tPvRmT0_T1_T2_T3_T4_T5_mmT6_P12ihipStream_tbEUlT_E_NS1_11comp_targetILNS1_3genE8ELNS1_11target_archE1030ELNS1_3gpuE2ELNS1_3repE0EEENS1_30default_config_static_selectorELNS0_4arch9wavefront6targetE0EEEvSP_,comdat
	.protected	_ZN7rocprim17ROCPRIM_400000_NS6detail17trampoline_kernelINS0_14default_configENS1_21merge_config_selectorIiNS0_10empty_typeEEEZNS1_10merge_implIS3_N6thrust23THRUST_200600_302600_NS6detail15normal_iteratorINS9_10device_ptrIKiEEEESF_NSB_INSC_IiEEEEPS5_SI_SI_NS9_4lessIiEEEE10hipError_tPvRmT0_T1_T2_T3_T4_T5_mmT6_P12ihipStream_tbEUlT_E_NS1_11comp_targetILNS1_3genE8ELNS1_11target_archE1030ELNS1_3gpuE2ELNS1_3repE0EEENS1_30default_config_static_selectorELNS0_4arch9wavefront6targetE0EEEvSP_ ; -- Begin function _ZN7rocprim17ROCPRIM_400000_NS6detail17trampoline_kernelINS0_14default_configENS1_21merge_config_selectorIiNS0_10empty_typeEEEZNS1_10merge_implIS3_N6thrust23THRUST_200600_302600_NS6detail15normal_iteratorINS9_10device_ptrIKiEEEESF_NSB_INSC_IiEEEEPS5_SI_SI_NS9_4lessIiEEEE10hipError_tPvRmT0_T1_T2_T3_T4_T5_mmT6_P12ihipStream_tbEUlT_E_NS1_11comp_targetILNS1_3genE8ELNS1_11target_archE1030ELNS1_3gpuE2ELNS1_3repE0EEENS1_30default_config_static_selectorELNS0_4arch9wavefront6targetE0EEEvSP_
	.globl	_ZN7rocprim17ROCPRIM_400000_NS6detail17trampoline_kernelINS0_14default_configENS1_21merge_config_selectorIiNS0_10empty_typeEEEZNS1_10merge_implIS3_N6thrust23THRUST_200600_302600_NS6detail15normal_iteratorINS9_10device_ptrIKiEEEESF_NSB_INSC_IiEEEEPS5_SI_SI_NS9_4lessIiEEEE10hipError_tPvRmT0_T1_T2_T3_T4_T5_mmT6_P12ihipStream_tbEUlT_E_NS1_11comp_targetILNS1_3genE8ELNS1_11target_archE1030ELNS1_3gpuE2ELNS1_3repE0EEENS1_30default_config_static_selectorELNS0_4arch9wavefront6targetE0EEEvSP_
	.p2align	8
	.type	_ZN7rocprim17ROCPRIM_400000_NS6detail17trampoline_kernelINS0_14default_configENS1_21merge_config_selectorIiNS0_10empty_typeEEEZNS1_10merge_implIS3_N6thrust23THRUST_200600_302600_NS6detail15normal_iteratorINS9_10device_ptrIKiEEEESF_NSB_INSC_IiEEEEPS5_SI_SI_NS9_4lessIiEEEE10hipError_tPvRmT0_T1_T2_T3_T4_T5_mmT6_P12ihipStream_tbEUlT_E_NS1_11comp_targetILNS1_3genE8ELNS1_11target_archE1030ELNS1_3gpuE2ELNS1_3repE0EEENS1_30default_config_static_selectorELNS0_4arch9wavefront6targetE0EEEvSP_,@function
_ZN7rocprim17ROCPRIM_400000_NS6detail17trampoline_kernelINS0_14default_configENS1_21merge_config_selectorIiNS0_10empty_typeEEEZNS1_10merge_implIS3_N6thrust23THRUST_200600_302600_NS6detail15normal_iteratorINS9_10device_ptrIKiEEEESF_NSB_INSC_IiEEEEPS5_SI_SI_NS9_4lessIiEEEE10hipError_tPvRmT0_T1_T2_T3_T4_T5_mmT6_P12ihipStream_tbEUlT_E_NS1_11comp_targetILNS1_3genE8ELNS1_11target_archE1030ELNS1_3gpuE2ELNS1_3repE0EEENS1_30default_config_static_selectorELNS0_4arch9wavefront6targetE0EEEvSP_: ; @_ZN7rocprim17ROCPRIM_400000_NS6detail17trampoline_kernelINS0_14default_configENS1_21merge_config_selectorIiNS0_10empty_typeEEEZNS1_10merge_implIS3_N6thrust23THRUST_200600_302600_NS6detail15normal_iteratorINS9_10device_ptrIKiEEEESF_NSB_INSC_IiEEEEPS5_SI_SI_NS9_4lessIiEEEE10hipError_tPvRmT0_T1_T2_T3_T4_T5_mmT6_P12ihipStream_tbEUlT_E_NS1_11comp_targetILNS1_3genE8ELNS1_11target_archE1030ELNS1_3gpuE2ELNS1_3repE0EEENS1_30default_config_static_selectorELNS0_4arch9wavefront6targetE0EEEvSP_
; %bb.0:
	.section	.rodata,"a",@progbits
	.p2align	6, 0x0
	.amdhsa_kernel _ZN7rocprim17ROCPRIM_400000_NS6detail17trampoline_kernelINS0_14default_configENS1_21merge_config_selectorIiNS0_10empty_typeEEEZNS1_10merge_implIS3_N6thrust23THRUST_200600_302600_NS6detail15normal_iteratorINS9_10device_ptrIKiEEEESF_NSB_INSC_IiEEEEPS5_SI_SI_NS9_4lessIiEEEE10hipError_tPvRmT0_T1_T2_T3_T4_T5_mmT6_P12ihipStream_tbEUlT_E_NS1_11comp_targetILNS1_3genE8ELNS1_11target_archE1030ELNS1_3gpuE2ELNS1_3repE0EEENS1_30default_config_static_selectorELNS0_4arch9wavefront6targetE0EEEvSP_
		.amdhsa_group_segment_fixed_size 0
		.amdhsa_private_segment_fixed_size 0
		.amdhsa_kernarg_size 48
		.amdhsa_user_sgpr_count 2
		.amdhsa_user_sgpr_dispatch_ptr 0
		.amdhsa_user_sgpr_queue_ptr 0
		.amdhsa_user_sgpr_kernarg_segment_ptr 1
		.amdhsa_user_sgpr_dispatch_id 0
		.amdhsa_user_sgpr_kernarg_preload_length 0
		.amdhsa_user_sgpr_kernarg_preload_offset 0
		.amdhsa_user_sgpr_private_segment_size 0
		.amdhsa_wavefront_size32 1
		.amdhsa_uses_dynamic_stack 0
		.amdhsa_enable_private_segment 0
		.amdhsa_system_sgpr_workgroup_id_x 1
		.amdhsa_system_sgpr_workgroup_id_y 0
		.amdhsa_system_sgpr_workgroup_id_z 0
		.amdhsa_system_sgpr_workgroup_info 0
		.amdhsa_system_vgpr_workitem_id 0
		.amdhsa_next_free_vgpr 1
		.amdhsa_next_free_sgpr 1
		.amdhsa_named_barrier_count 0
		.amdhsa_reserve_vcc 0
		.amdhsa_float_round_mode_32 0
		.amdhsa_float_round_mode_16_64 0
		.amdhsa_float_denorm_mode_32 3
		.amdhsa_float_denorm_mode_16_64 3
		.amdhsa_fp16_overflow 0
		.amdhsa_memory_ordered 1
		.amdhsa_forward_progress 1
		.amdhsa_inst_pref_size 0
		.amdhsa_round_robin_scheduling 0
		.amdhsa_exception_fp_ieee_invalid_op 0
		.amdhsa_exception_fp_denorm_src 0
		.amdhsa_exception_fp_ieee_div_zero 0
		.amdhsa_exception_fp_ieee_overflow 0
		.amdhsa_exception_fp_ieee_underflow 0
		.amdhsa_exception_fp_ieee_inexact 0
		.amdhsa_exception_int_div_zero 0
	.end_amdhsa_kernel
	.section	.text._ZN7rocprim17ROCPRIM_400000_NS6detail17trampoline_kernelINS0_14default_configENS1_21merge_config_selectorIiNS0_10empty_typeEEEZNS1_10merge_implIS3_N6thrust23THRUST_200600_302600_NS6detail15normal_iteratorINS9_10device_ptrIKiEEEESF_NSB_INSC_IiEEEEPS5_SI_SI_NS9_4lessIiEEEE10hipError_tPvRmT0_T1_T2_T3_T4_T5_mmT6_P12ihipStream_tbEUlT_E_NS1_11comp_targetILNS1_3genE8ELNS1_11target_archE1030ELNS1_3gpuE2ELNS1_3repE0EEENS1_30default_config_static_selectorELNS0_4arch9wavefront6targetE0EEEvSP_,"axG",@progbits,_ZN7rocprim17ROCPRIM_400000_NS6detail17trampoline_kernelINS0_14default_configENS1_21merge_config_selectorIiNS0_10empty_typeEEEZNS1_10merge_implIS3_N6thrust23THRUST_200600_302600_NS6detail15normal_iteratorINS9_10device_ptrIKiEEEESF_NSB_INSC_IiEEEEPS5_SI_SI_NS9_4lessIiEEEE10hipError_tPvRmT0_T1_T2_T3_T4_T5_mmT6_P12ihipStream_tbEUlT_E_NS1_11comp_targetILNS1_3genE8ELNS1_11target_archE1030ELNS1_3gpuE2ELNS1_3repE0EEENS1_30default_config_static_selectorELNS0_4arch9wavefront6targetE0EEEvSP_,comdat
.Lfunc_end9:
	.size	_ZN7rocprim17ROCPRIM_400000_NS6detail17trampoline_kernelINS0_14default_configENS1_21merge_config_selectorIiNS0_10empty_typeEEEZNS1_10merge_implIS3_N6thrust23THRUST_200600_302600_NS6detail15normal_iteratorINS9_10device_ptrIKiEEEESF_NSB_INSC_IiEEEEPS5_SI_SI_NS9_4lessIiEEEE10hipError_tPvRmT0_T1_T2_T3_T4_T5_mmT6_P12ihipStream_tbEUlT_E_NS1_11comp_targetILNS1_3genE8ELNS1_11target_archE1030ELNS1_3gpuE2ELNS1_3repE0EEENS1_30default_config_static_selectorELNS0_4arch9wavefront6targetE0EEEvSP_, .Lfunc_end9-_ZN7rocprim17ROCPRIM_400000_NS6detail17trampoline_kernelINS0_14default_configENS1_21merge_config_selectorIiNS0_10empty_typeEEEZNS1_10merge_implIS3_N6thrust23THRUST_200600_302600_NS6detail15normal_iteratorINS9_10device_ptrIKiEEEESF_NSB_INSC_IiEEEEPS5_SI_SI_NS9_4lessIiEEEE10hipError_tPvRmT0_T1_T2_T3_T4_T5_mmT6_P12ihipStream_tbEUlT_E_NS1_11comp_targetILNS1_3genE8ELNS1_11target_archE1030ELNS1_3gpuE2ELNS1_3repE0EEENS1_30default_config_static_selectorELNS0_4arch9wavefront6targetE0EEEvSP_
                                        ; -- End function
	.set _ZN7rocprim17ROCPRIM_400000_NS6detail17trampoline_kernelINS0_14default_configENS1_21merge_config_selectorIiNS0_10empty_typeEEEZNS1_10merge_implIS3_N6thrust23THRUST_200600_302600_NS6detail15normal_iteratorINS9_10device_ptrIKiEEEESF_NSB_INSC_IiEEEEPS5_SI_SI_NS9_4lessIiEEEE10hipError_tPvRmT0_T1_T2_T3_T4_T5_mmT6_P12ihipStream_tbEUlT_E_NS1_11comp_targetILNS1_3genE8ELNS1_11target_archE1030ELNS1_3gpuE2ELNS1_3repE0EEENS1_30default_config_static_selectorELNS0_4arch9wavefront6targetE0EEEvSP_.num_vgpr, 0
	.set _ZN7rocprim17ROCPRIM_400000_NS6detail17trampoline_kernelINS0_14default_configENS1_21merge_config_selectorIiNS0_10empty_typeEEEZNS1_10merge_implIS3_N6thrust23THRUST_200600_302600_NS6detail15normal_iteratorINS9_10device_ptrIKiEEEESF_NSB_INSC_IiEEEEPS5_SI_SI_NS9_4lessIiEEEE10hipError_tPvRmT0_T1_T2_T3_T4_T5_mmT6_P12ihipStream_tbEUlT_E_NS1_11comp_targetILNS1_3genE8ELNS1_11target_archE1030ELNS1_3gpuE2ELNS1_3repE0EEENS1_30default_config_static_selectorELNS0_4arch9wavefront6targetE0EEEvSP_.num_agpr, 0
	.set _ZN7rocprim17ROCPRIM_400000_NS6detail17trampoline_kernelINS0_14default_configENS1_21merge_config_selectorIiNS0_10empty_typeEEEZNS1_10merge_implIS3_N6thrust23THRUST_200600_302600_NS6detail15normal_iteratorINS9_10device_ptrIKiEEEESF_NSB_INSC_IiEEEEPS5_SI_SI_NS9_4lessIiEEEE10hipError_tPvRmT0_T1_T2_T3_T4_T5_mmT6_P12ihipStream_tbEUlT_E_NS1_11comp_targetILNS1_3genE8ELNS1_11target_archE1030ELNS1_3gpuE2ELNS1_3repE0EEENS1_30default_config_static_selectorELNS0_4arch9wavefront6targetE0EEEvSP_.numbered_sgpr, 0
	.set _ZN7rocprim17ROCPRIM_400000_NS6detail17trampoline_kernelINS0_14default_configENS1_21merge_config_selectorIiNS0_10empty_typeEEEZNS1_10merge_implIS3_N6thrust23THRUST_200600_302600_NS6detail15normal_iteratorINS9_10device_ptrIKiEEEESF_NSB_INSC_IiEEEEPS5_SI_SI_NS9_4lessIiEEEE10hipError_tPvRmT0_T1_T2_T3_T4_T5_mmT6_P12ihipStream_tbEUlT_E_NS1_11comp_targetILNS1_3genE8ELNS1_11target_archE1030ELNS1_3gpuE2ELNS1_3repE0EEENS1_30default_config_static_selectorELNS0_4arch9wavefront6targetE0EEEvSP_.num_named_barrier, 0
	.set _ZN7rocprim17ROCPRIM_400000_NS6detail17trampoline_kernelINS0_14default_configENS1_21merge_config_selectorIiNS0_10empty_typeEEEZNS1_10merge_implIS3_N6thrust23THRUST_200600_302600_NS6detail15normal_iteratorINS9_10device_ptrIKiEEEESF_NSB_INSC_IiEEEEPS5_SI_SI_NS9_4lessIiEEEE10hipError_tPvRmT0_T1_T2_T3_T4_T5_mmT6_P12ihipStream_tbEUlT_E_NS1_11comp_targetILNS1_3genE8ELNS1_11target_archE1030ELNS1_3gpuE2ELNS1_3repE0EEENS1_30default_config_static_selectorELNS0_4arch9wavefront6targetE0EEEvSP_.private_seg_size, 0
	.set _ZN7rocprim17ROCPRIM_400000_NS6detail17trampoline_kernelINS0_14default_configENS1_21merge_config_selectorIiNS0_10empty_typeEEEZNS1_10merge_implIS3_N6thrust23THRUST_200600_302600_NS6detail15normal_iteratorINS9_10device_ptrIKiEEEESF_NSB_INSC_IiEEEEPS5_SI_SI_NS9_4lessIiEEEE10hipError_tPvRmT0_T1_T2_T3_T4_T5_mmT6_P12ihipStream_tbEUlT_E_NS1_11comp_targetILNS1_3genE8ELNS1_11target_archE1030ELNS1_3gpuE2ELNS1_3repE0EEENS1_30default_config_static_selectorELNS0_4arch9wavefront6targetE0EEEvSP_.uses_vcc, 0
	.set _ZN7rocprim17ROCPRIM_400000_NS6detail17trampoline_kernelINS0_14default_configENS1_21merge_config_selectorIiNS0_10empty_typeEEEZNS1_10merge_implIS3_N6thrust23THRUST_200600_302600_NS6detail15normal_iteratorINS9_10device_ptrIKiEEEESF_NSB_INSC_IiEEEEPS5_SI_SI_NS9_4lessIiEEEE10hipError_tPvRmT0_T1_T2_T3_T4_T5_mmT6_P12ihipStream_tbEUlT_E_NS1_11comp_targetILNS1_3genE8ELNS1_11target_archE1030ELNS1_3gpuE2ELNS1_3repE0EEENS1_30default_config_static_selectorELNS0_4arch9wavefront6targetE0EEEvSP_.uses_flat_scratch, 0
	.set _ZN7rocprim17ROCPRIM_400000_NS6detail17trampoline_kernelINS0_14default_configENS1_21merge_config_selectorIiNS0_10empty_typeEEEZNS1_10merge_implIS3_N6thrust23THRUST_200600_302600_NS6detail15normal_iteratorINS9_10device_ptrIKiEEEESF_NSB_INSC_IiEEEEPS5_SI_SI_NS9_4lessIiEEEE10hipError_tPvRmT0_T1_T2_T3_T4_T5_mmT6_P12ihipStream_tbEUlT_E_NS1_11comp_targetILNS1_3genE8ELNS1_11target_archE1030ELNS1_3gpuE2ELNS1_3repE0EEENS1_30default_config_static_selectorELNS0_4arch9wavefront6targetE0EEEvSP_.has_dyn_sized_stack, 0
	.set _ZN7rocprim17ROCPRIM_400000_NS6detail17trampoline_kernelINS0_14default_configENS1_21merge_config_selectorIiNS0_10empty_typeEEEZNS1_10merge_implIS3_N6thrust23THRUST_200600_302600_NS6detail15normal_iteratorINS9_10device_ptrIKiEEEESF_NSB_INSC_IiEEEEPS5_SI_SI_NS9_4lessIiEEEE10hipError_tPvRmT0_T1_T2_T3_T4_T5_mmT6_P12ihipStream_tbEUlT_E_NS1_11comp_targetILNS1_3genE8ELNS1_11target_archE1030ELNS1_3gpuE2ELNS1_3repE0EEENS1_30default_config_static_selectorELNS0_4arch9wavefront6targetE0EEEvSP_.has_recursion, 0
	.set _ZN7rocprim17ROCPRIM_400000_NS6detail17trampoline_kernelINS0_14default_configENS1_21merge_config_selectorIiNS0_10empty_typeEEEZNS1_10merge_implIS3_N6thrust23THRUST_200600_302600_NS6detail15normal_iteratorINS9_10device_ptrIKiEEEESF_NSB_INSC_IiEEEEPS5_SI_SI_NS9_4lessIiEEEE10hipError_tPvRmT0_T1_T2_T3_T4_T5_mmT6_P12ihipStream_tbEUlT_E_NS1_11comp_targetILNS1_3genE8ELNS1_11target_archE1030ELNS1_3gpuE2ELNS1_3repE0EEENS1_30default_config_static_selectorELNS0_4arch9wavefront6targetE0EEEvSP_.has_indirect_call, 0
	.section	.AMDGPU.csdata,"",@progbits
; Kernel info:
; codeLenInByte = 0
; TotalNumSgprs: 0
; NumVgprs: 0
; ScratchSize: 0
; MemoryBound: 0
; FloatMode: 240
; IeeeMode: 1
; LDSByteSize: 0 bytes/workgroup (compile time only)
; SGPRBlocks: 0
; VGPRBlocks: 0
; NumSGPRsForWavesPerEU: 1
; NumVGPRsForWavesPerEU: 1
; NamedBarCnt: 0
; Occupancy: 16
; WaveLimiterHint : 0
; COMPUTE_PGM_RSRC2:SCRATCH_EN: 0
; COMPUTE_PGM_RSRC2:USER_SGPR: 2
; COMPUTE_PGM_RSRC2:TRAP_HANDLER: 0
; COMPUTE_PGM_RSRC2:TGID_X_EN: 1
; COMPUTE_PGM_RSRC2:TGID_Y_EN: 0
; COMPUTE_PGM_RSRC2:TGID_Z_EN: 0
; COMPUTE_PGM_RSRC2:TIDIG_COMP_CNT: 0
	.section	.text._ZN7rocprim17ROCPRIM_400000_NS6detail17trampoline_kernelINS0_14default_configENS1_21merge_config_selectorIiNS0_10empty_typeEEEZNS1_10merge_implIS3_N6thrust23THRUST_200600_302600_NS6detail15normal_iteratorINS9_10device_ptrIKiEEEESF_NSB_INSC_IiEEEEPS5_SI_SI_NS9_4lessIiEEEE10hipError_tPvRmT0_T1_T2_T3_T4_T5_mmT6_P12ihipStream_tbEUlT_E0_NS1_11comp_targetILNS1_3genE0ELNS1_11target_archE4294967295ELNS1_3gpuE0ELNS1_3repE0EEENS1_30default_config_static_selectorELNS0_4arch9wavefront6targetE0EEEvSP_,"axG",@progbits,_ZN7rocprim17ROCPRIM_400000_NS6detail17trampoline_kernelINS0_14default_configENS1_21merge_config_selectorIiNS0_10empty_typeEEEZNS1_10merge_implIS3_N6thrust23THRUST_200600_302600_NS6detail15normal_iteratorINS9_10device_ptrIKiEEEESF_NSB_INSC_IiEEEEPS5_SI_SI_NS9_4lessIiEEEE10hipError_tPvRmT0_T1_T2_T3_T4_T5_mmT6_P12ihipStream_tbEUlT_E0_NS1_11comp_targetILNS1_3genE0ELNS1_11target_archE4294967295ELNS1_3gpuE0ELNS1_3repE0EEENS1_30default_config_static_selectorELNS0_4arch9wavefront6targetE0EEEvSP_,comdat
	.protected	_ZN7rocprim17ROCPRIM_400000_NS6detail17trampoline_kernelINS0_14default_configENS1_21merge_config_selectorIiNS0_10empty_typeEEEZNS1_10merge_implIS3_N6thrust23THRUST_200600_302600_NS6detail15normal_iteratorINS9_10device_ptrIKiEEEESF_NSB_INSC_IiEEEEPS5_SI_SI_NS9_4lessIiEEEE10hipError_tPvRmT0_T1_T2_T3_T4_T5_mmT6_P12ihipStream_tbEUlT_E0_NS1_11comp_targetILNS1_3genE0ELNS1_11target_archE4294967295ELNS1_3gpuE0ELNS1_3repE0EEENS1_30default_config_static_selectorELNS0_4arch9wavefront6targetE0EEEvSP_ ; -- Begin function _ZN7rocprim17ROCPRIM_400000_NS6detail17trampoline_kernelINS0_14default_configENS1_21merge_config_selectorIiNS0_10empty_typeEEEZNS1_10merge_implIS3_N6thrust23THRUST_200600_302600_NS6detail15normal_iteratorINS9_10device_ptrIKiEEEESF_NSB_INSC_IiEEEEPS5_SI_SI_NS9_4lessIiEEEE10hipError_tPvRmT0_T1_T2_T3_T4_T5_mmT6_P12ihipStream_tbEUlT_E0_NS1_11comp_targetILNS1_3genE0ELNS1_11target_archE4294967295ELNS1_3gpuE0ELNS1_3repE0EEENS1_30default_config_static_selectorELNS0_4arch9wavefront6targetE0EEEvSP_
	.globl	_ZN7rocprim17ROCPRIM_400000_NS6detail17trampoline_kernelINS0_14default_configENS1_21merge_config_selectorIiNS0_10empty_typeEEEZNS1_10merge_implIS3_N6thrust23THRUST_200600_302600_NS6detail15normal_iteratorINS9_10device_ptrIKiEEEESF_NSB_INSC_IiEEEEPS5_SI_SI_NS9_4lessIiEEEE10hipError_tPvRmT0_T1_T2_T3_T4_T5_mmT6_P12ihipStream_tbEUlT_E0_NS1_11comp_targetILNS1_3genE0ELNS1_11target_archE4294967295ELNS1_3gpuE0ELNS1_3repE0EEENS1_30default_config_static_selectorELNS0_4arch9wavefront6targetE0EEEvSP_
	.p2align	8
	.type	_ZN7rocprim17ROCPRIM_400000_NS6detail17trampoline_kernelINS0_14default_configENS1_21merge_config_selectorIiNS0_10empty_typeEEEZNS1_10merge_implIS3_N6thrust23THRUST_200600_302600_NS6detail15normal_iteratorINS9_10device_ptrIKiEEEESF_NSB_INSC_IiEEEEPS5_SI_SI_NS9_4lessIiEEEE10hipError_tPvRmT0_T1_T2_T3_T4_T5_mmT6_P12ihipStream_tbEUlT_E0_NS1_11comp_targetILNS1_3genE0ELNS1_11target_archE4294967295ELNS1_3gpuE0ELNS1_3repE0EEENS1_30default_config_static_selectorELNS0_4arch9wavefront6targetE0EEEvSP_,@function
_ZN7rocprim17ROCPRIM_400000_NS6detail17trampoline_kernelINS0_14default_configENS1_21merge_config_selectorIiNS0_10empty_typeEEEZNS1_10merge_implIS3_N6thrust23THRUST_200600_302600_NS6detail15normal_iteratorINS9_10device_ptrIKiEEEESF_NSB_INSC_IiEEEEPS5_SI_SI_NS9_4lessIiEEEE10hipError_tPvRmT0_T1_T2_T3_T4_T5_mmT6_P12ihipStream_tbEUlT_E0_NS1_11comp_targetILNS1_3genE0ELNS1_11target_archE4294967295ELNS1_3gpuE0ELNS1_3repE0EEENS1_30default_config_static_selectorELNS0_4arch9wavefront6targetE0EEEvSP_: ; @_ZN7rocprim17ROCPRIM_400000_NS6detail17trampoline_kernelINS0_14default_configENS1_21merge_config_selectorIiNS0_10empty_typeEEEZNS1_10merge_implIS3_N6thrust23THRUST_200600_302600_NS6detail15normal_iteratorINS9_10device_ptrIKiEEEESF_NSB_INSC_IiEEEEPS5_SI_SI_NS9_4lessIiEEEE10hipError_tPvRmT0_T1_T2_T3_T4_T5_mmT6_P12ihipStream_tbEUlT_E0_NS1_11comp_targetILNS1_3genE0ELNS1_11target_archE4294967295ELNS1_3gpuE0ELNS1_3repE0EEENS1_30default_config_static_selectorELNS0_4arch9wavefront6targetE0EEEvSP_
; %bb.0:
	s_clause 0x1
	s_load_b128 s[12:15], s[0:1], 0x40
	s_load_b256 s[4:11], s[0:1], 0x8
	s_bfe_u32 s2, ttmp6, 0x4000c
	s_wait_xcnt 0x0
	s_and_b32 s0, ttmp6, 15
	s_add_co_i32 s2, s2, 1
	s_wait_kmcnt 0x0
	s_mov_b32 s15, 0
	s_mul_i32 s1, ttmp9, s2
	s_getreg_b32 s2, hwreg(HW_REG_IB_STS2, 6, 4)
	s_add_co_i32 s0, s0, s1
	s_cmp_eq_u32 s2, 0
	v_mov_b32_e32 v1, 0
	s_cselect_b32 s0, ttmp9, s0
	s_delay_alu instid0(SALU_CYCLE_1) | instskip(SKIP_3) | instid1(SALU_CYCLE_1)
	s_add_co_i32 s2, s0, 1
	s_add_co_i32 s18, s14, s12
	s_mul_i32 s12, s0, 0xa00
	s_add_co_i32 s1, s18, 0x9ff
	s_mul_hi_u32 s1, s1, 0xcccccccd
	s_delay_alu instid0(SALU_CYCLE_1) | instskip(NEXT) | instid1(SALU_CYCLE_1)
	s_lshr_b32 s1, s1, 11
	s_min_u32 s3, s0, s1
	s_min_u32 s1, s2, s1
	s_clause 0x1
	s_load_b32 s14, s[4:5], s3 offset:0x0 scale_offset
	s_load_b32 s13, s[4:5], s1 offset:0x0 scale_offset
	s_add_co_i32 s0, s12, 0xa00
	s_wait_xcnt 0x0
	s_mov_b32 s1, s15
	s_min_u32 s4, s18, s0
	s_wait_kmcnt 0x0
	s_sub_co_i32 s0, s12, s14
	s_lshl_b64 s[16:17], s[14:15], 2
	s_lshl_b64 s[2:3], s[0:1], 2
	s_add_co_i32 s0, s0, s13
	s_sub_co_i32 s14, s13, s14
	s_sub_co_i32 s0, s4, s0
	s_add_nc_u64 s[2:3], s[8:9], s[2:3]
	s_add_nc_u64 s[4:5], s[0:1], s[14:15]
	s_mov_b32 s1, exec_lo
	v_cmpx_le_u32_e64 s14, v0
	s_xor_b32 s1, exec_lo, s1
	s_cbranch_execz .LBB10_4
; %bb.1:
	s_mov_b32 s8, exec_lo
	v_cmpx_gt_u64_e64 s[4:5], v[0:1]
	s_cbranch_execz .LBB10_3
; %bb.2:
	v_subrev_nc_u32_e32 v2, s14, v0
	v_lshlrev_b32_e32 v3, 2, v0
	global_load_b32 v2, v2, s[2:3] scale_offset
	s_wait_loadcnt 0x0
	ds_store_b32 v3, v2
.LBB10_3:
	s_or_b32 exec_lo, exec_lo, s8
.LBB10_4:
	s_or_saveexec_b32 s1, s1
	v_lshlrev_b32_e32 v4, 2, v0
	s_add_nc_u64 s[6:7], s[6:7], s[16:17]
	s_xor_b32 exec_lo, exec_lo, s1
	s_cbranch_execz .LBB10_6
; %bb.5:
	global_load_b32 v2, v0, s[6:7] scale_offset
	s_wait_loadcnt 0x0
	ds_store_b32 v4, v2
.LBB10_6:
	s_or_b32 exec_lo, exec_lo, s1
	v_or_b32_e32 v2, 0x100, v0
	v_mov_b32_e32 v3, 0
	s_mov_b32 s1, exec_lo
	s_delay_alu instid0(VALU_DEP_2)
	v_cmpx_le_u32_e64 s14, v2
	s_xor_b32 s1, exec_lo, s1
	s_cbranch_execz .LBB10_10
; %bb.7:
	s_mov_b32 s8, exec_lo
	v_cmpx_gt_u64_e64 s[4:5], v[2:3]
	s_cbranch_execz .LBB10_9
; %bb.8:
	v_sub_nc_u64_e64 v[6:7], v[0:1], s[14:15]
	s_delay_alu instid0(VALU_DEP_1)
	v_lshl_add_u64 v[6:7], v[6:7], 2, s[2:3]
	global_load_b32 v3, v[6:7], off offset:1024
	s_wait_loadcnt 0x0
	ds_store_b32 v4, v3 offset:1024
.LBB10_9:
	s_or_b32 exec_lo, exec_lo, s8
.LBB10_10:
	s_and_not1_saveexec_b32 s1, s1
	s_cbranch_execz .LBB10_12
; %bb.11:
	global_load_b32 v3, v0, s[6:7] offset:1024 scale_offset
	s_wait_loadcnt 0x0
	ds_store_b32 v4, v3 offset:1024
.LBB10_12:
	s_or_b32 exec_lo, exec_lo, s1
	v_or_b32_e32 v6, 0x200, v0
	v_mov_b32_e32 v7, 0
	s_mov_b32 s1, exec_lo
	s_delay_alu instid0(VALU_DEP_2)
	v_cmpx_le_u32_e64 s14, v6
	s_xor_b32 s1, exec_lo, s1
	s_cbranch_execz .LBB10_16
; %bb.13:
	s_mov_b32 s8, exec_lo
	v_cmpx_gt_u64_e64 s[4:5], v[6:7]
	s_cbranch_execz .LBB10_15
; %bb.14:
	v_sub_nc_u64_e64 v[8:9], v[0:1], s[14:15]
	s_delay_alu instid0(VALU_DEP_1)
	v_lshl_add_u64 v[8:9], v[8:9], 2, s[2:3]
	global_load_b32 v3, v[8:9], off offset:2048
	s_wait_loadcnt 0x0
	ds_store_b32 v4, v3 offset:2048
.LBB10_15:
	s_or_b32 exec_lo, exec_lo, s8
.LBB10_16:
	s_and_not1_saveexec_b32 s1, s1
	s_cbranch_execz .LBB10_18
; %bb.17:
	global_load_b32 v3, v0, s[6:7] offset:2048 scale_offset
	s_wait_loadcnt 0x0
	ds_store_b32 v4, v3 offset:2048
.LBB10_18:
	;; [unrolled: 29-line block ×8, first 2 shown]
	s_or_b32 exec_lo, exec_lo, s1
	v_or_b32_e32 v20, 0x900, v0
	v_mov_b32_e32 v21, 0
	s_mov_b32 s1, exec_lo
	s_delay_alu instid0(VALU_DEP_2)
	v_cmpx_le_u32_e64 s14, v20
	s_xor_b32 s1, exec_lo, s1
	s_cbranch_execz .LBB10_58
; %bb.55:
	v_cmp_gt_u64_e32 vcc_lo, s[4:5], v[20:21]
	s_and_saveexec_b32 s4, vcc_lo
	s_cbranch_execz .LBB10_57
; %bb.56:
	v_sub_nc_u64_e64 v[22:23], v[0:1], s[14:15]
	s_delay_alu instid0(VALU_DEP_1)
	v_lshl_add_u64 v[22:23], v[22:23], 2, s[2:3]
	global_load_b32 v1, v[22:23], off offset:9216
	s_wait_loadcnt 0x0
	ds_store_b32 v4, v1 offset:9216
.LBB10_57:
	s_or_b32 exec_lo, exec_lo, s4
.LBB10_58:
	s_and_not1_saveexec_b32 s1, s1
	s_cbranch_execz .LBB10_60
; %bb.59:
	global_load_b32 v1, v0, s[6:7] offset:9216 scale_offset
	s_wait_loadcnt 0x0
	ds_store_b32 v4, v1 offset:9216
.LBB10_60:
	s_or_b32 exec_lo, exec_lo, s1
	v_mul_u32_u24_e32 v1, 10, v0
	s_mov_b32 s1, exec_lo
	s_wait_dscnt 0x0
	s_barrier_signal -1
	s_barrier_wait -1
	v_sub_nc_u32_e64 v5, v1, s0 clamp
	v_min_u32_e32 v3, s14, v1
	s_delay_alu instid0(VALU_DEP_1)
	v_cmpx_lt_u32_e64 v5, v3
	s_cbranch_execz .LBB10_64
; %bb.61:
	v_lshlrev_b32_e32 v7, 2, v1
	s_mov_b32 s2, 0
	s_delay_alu instid0(VALU_DEP_1)
	v_lshl_add_u32 v7, s14, 2, v7
.LBB10_62:                              ; =>This Inner Loop Header: Depth=1
	v_add_nc_u32_e32 v9, v3, v5
	s_delay_alu instid0(VALU_DEP_1) | instskip(NEXT) | instid1(VALU_DEP_1)
	v_lshrrev_b32_e32 v9, 1, v9
	v_not_b32_e32 v11, v9
	v_dual_lshlrev_b32 v13, 2, v9 :: v_dual_add_nc_u32 v15, 1, v9
	s_delay_alu instid0(VALU_DEP_2)
	v_lshl_add_u32 v11, v11, 2, v7
	ds_load_b32 v13, v13
	ds_load_b32 v11, v11
	s_wait_dscnt 0x0
	v_cmp_lt_i32_e32 vcc_lo, v11, v13
	v_cndmask_b32_e32 v3, v3, v9, vcc_lo
	v_cndmask_b32_e32 v5, v15, v5, vcc_lo
	s_delay_alu instid0(VALU_DEP_1) | instskip(SKIP_1) | instid1(SALU_CYCLE_1)
	v_cmp_ge_u32_e32 vcc_lo, v5, v3
	s_or_b32 s2, vcc_lo, s2
	s_and_not1_b32 exec_lo, exec_lo, s2
	s_cbranch_execnz .LBB10_62
; %bb.63:
	s_or_b32 exec_lo, exec_lo, s2
.LBB10_64:
	s_delay_alu instid0(SALU_CYCLE_1) | instskip(SKIP_4) | instid1(VALU_DEP_3)
	s_or_b32 exec_lo, exec_lo, s1
	v_dual_add_nc_u32 v1, s14, v1 :: v_dual_mov_b32 v29, 0
	v_mov_b32_e32 v28, 0
	s_add_co_i32 s13, s0, s14
	v_cmp_ge_u32_e32 vcc_lo, s14, v5
	v_dual_sub_nc_u32 v7, v1, v5 :: v_dual_mov_b32 v31, 0
	v_dual_mov_b32 v30, 0 :: v_dual_mov_b32 v27, 0
	v_mov_b32_e32 v26, 0
	s_delay_alu instid0(VALU_DEP_3) | instskip(SKIP_3) | instid1(SALU_CYCLE_1)
	v_cmp_ge_u32_e64 s0, s13, v7
	v_dual_mov_b32 v25, 0 :: v_dual_mov_b32 v24, 0
	v_dual_mov_b32 v23, 0 :: v_dual_mov_b32 v22, 0
	s_or_b32 s0, vcc_lo, s0
	s_and_saveexec_b32 s15, s0
	s_cbranch_execz .LBB10_70
; %bb.65:
	v_cmp_gt_u32_e32 vcc_lo, s14, v5
                                        ; implicit-def: $vgpr1
	s_and_saveexec_b32 s0, vcc_lo
; %bb.66:
	v_lshlrev_b32_e32 v1, 2, v5
	ds_load_b32 v1, v1
; %bb.67:
	s_or_b32 exec_lo, exec_lo, s0
	v_cmp_le_u32_e64 s0, s13, v7
	s_mov_b32 s2, exec_lo
                                        ; implicit-def: $vgpr3
	v_cmpx_gt_u32_e64 s13, v7
; %bb.68:
	v_lshlrev_b32_e32 v3, 2, v7
	ds_load_b32 v3, v3
; %bb.69:
	s_or_b32 exec_lo, exec_lo, s2
	s_wait_dscnt 0x0
	v_cmp_ge_i32_e64 s1, v3, v1
	s_and_b32 s1, vcc_lo, s1
	s_delay_alu instid0(SALU_CYCLE_1) | instskip(NEXT) | instid1(SALU_CYCLE_1)
	s_or_b32 vcc_lo, s0, s1
	v_dual_mov_b32 v9, s14 :: v_dual_cndmask_b32 v11, v7, v5, vcc_lo
	s_delay_alu instid0(VALU_DEP_1) | instskip(NEXT) | instid1(VALU_DEP_1)
	v_dual_cndmask_b32 v13, s13, v9, vcc_lo :: v_dual_add_nc_u32 v11, 1, v11
	v_add_min_u32_e64 v13, v13, -1, v11
	v_cndmask_b32_e32 v7, v11, v7, vcc_lo
	s_delay_alu instid0(VALU_DEP_2) | instskip(NEXT) | instid1(VALU_DEP_2)
	v_dual_cndmask_b32 v5, v5, v11, vcc_lo :: v_dual_lshlrev_b32 v13, 2, v13
	v_cmp_le_u32_e64 s2, s13, v7
	s_delay_alu instid0(VALU_DEP_2) | instskip(SKIP_4) | instid1(VALU_DEP_1)
	v_cmp_gt_u32_e64 s0, s14, v5
	ds_load_b32 v13, v13
	s_wait_dscnt 0x0
	v_cndmask_b32_e32 v15, v13, v3, vcc_lo
	v_cndmask_b32_e32 v13, v1, v13, vcc_lo
	v_cmp_ge_i32_e64 s1, v15, v13
	s_and_b32 s0, s0, s1
	s_delay_alu instid0(SALU_CYCLE_1) | instskip(NEXT) | instid1(SALU_CYCLE_1)
	s_or_b32 s0, s2, s0
	v_cndmask_b32_e64 v11, v7, v5, s0
	s_delay_alu instid0(VALU_DEP_1) | instskip(NEXT) | instid1(VALU_DEP_1)
	v_dual_cndmask_b32 v17, s13, v9, s0 :: v_dual_add_nc_u32 v11, 1, v11
	v_add_min_u32_e64 v17, v17, -1, v11
	s_delay_alu instid0(VALU_DEP_1) | instskip(SKIP_1) | instid1(VALU_DEP_2)
	v_dual_cndmask_b32 v5, v5, v11, s0 :: v_dual_lshlrev_b32 v17, 2, v17
	v_cndmask_b32_e64 v7, v11, v7, s0
	v_cmp_gt_u32_e64 s1, s14, v5
	ds_load_b32 v17, v17
	v_cmp_le_u32_e64 s3, s13, v7
	s_wait_dscnt 0x0
	v_cndmask_b32_e64 v19, v17, v15, s0
	v_cndmask_b32_e64 v17, v13, v17, s0
	s_delay_alu instid0(VALU_DEP_1) | instskip(SKIP_1) | instid1(SALU_CYCLE_1)
	v_cmp_ge_i32_e64 s2, v19, v17
	s_and_b32 s1, s1, s2
	s_or_b32 s1, s3, s1
	s_delay_alu instid0(SALU_CYCLE_1) | instskip(NEXT) | instid1(VALU_DEP_1)
	v_cndmask_b32_e64 v11, v7, v5, s1
	v_dual_cndmask_b32 v21, s13, v9, s1 :: v_dual_add_nc_u32 v11, 1, v11
	s_delay_alu instid0(VALU_DEP_1) | instskip(NEXT) | instid1(VALU_DEP_1)
	v_add_min_u32_e64 v21, v21, -1, v11
	v_dual_cndmask_b32 v7, v11, v7, s1 :: v_dual_lshlrev_b32 v21, 2, v21
	v_cndmask_b32_e64 v5, v5, v11, s1
	s_delay_alu instid0(VALU_DEP_2)
	v_cmp_le_u32_e64 s4, s13, v7
	ds_load_b32 v21, v21
	v_cmp_gt_u32_e64 s2, s14, v5
	s_wait_dscnt 0x0
	v_cndmask_b32_e64 v25, v21, v19, s1
	v_cndmask_b32_e64 v21, v17, v21, s1
	s_delay_alu instid0(VALU_DEP_1) | instskip(SKIP_1) | instid1(SALU_CYCLE_1)
	v_cmp_ge_i32_e64 s3, v25, v21
	s_and_b32 s2, s2, s3
	s_or_b32 s2, s4, s2
	s_delay_alu instid0(SALU_CYCLE_1) | instskip(NEXT) | instid1(VALU_DEP_1)
	v_cndmask_b32_e64 v11, v7, v5, s2
	v_dual_cndmask_b32 v22, s13, v9, s2 :: v_dual_add_nc_u32 v11, 1, v11
	s_delay_alu instid0(VALU_DEP_1) | instskip(NEXT) | instid1(VALU_DEP_1)
	v_add_min_u32_e64 v22, v22, -1, v11
	v_dual_cndmask_b32 v7, v11, v7, s2 :: v_dual_lshlrev_b32 v22, 2, v22
	s_delay_alu instid0(VALU_DEP_1) | instskip(SKIP_4) | instid1(VALU_DEP_2)
	v_cmp_le_u32_e64 s5, s13, v7
	ds_load_b32 v22, v22
	s_wait_dscnt 0x0
	v_dual_cndmask_b32 v5, v5, v11, s2 :: v_dual_cndmask_b32 v26, v22, v25, s2
	v_cndmask_b32_e64 v27, v21, v22, s2
	v_cmp_gt_u32_e64 s3, s14, v5
	s_delay_alu instid0(VALU_DEP_2) | instskip(SKIP_1) | instid1(SALU_CYCLE_1)
	v_cmp_ge_i32_e64 s4, v26, v27
	s_and_b32 s3, s3, s4
	s_or_b32 s3, s5, s3
	s_delay_alu instid0(SALU_CYCLE_1) | instskip(NEXT) | instid1(VALU_DEP_1)
	v_cndmask_b32_e64 v11, v7, v5, s3
	v_dual_cndmask_b32 v22, s13, v9, s3 :: v_dual_add_nc_u32 v11, 1, v11
	s_delay_alu instid0(VALU_DEP_1) | instskip(NEXT) | instid1(VALU_DEP_1)
	v_add_min_u32_e64 v22, v22, -1, v11
	v_lshlrev_b32_e32 v22, 2, v22
	ds_load_b32 v22, v22
	s_wait_dscnt 0x0
	v_dual_cndmask_b32 v5, v5, v11, s3 :: v_dual_cndmask_b32 v28, v22, v26, s3
	v_cndmask_b32_e64 v29, v27, v22, s3
	v_cndmask_b32_e64 v7, v11, v7, s3
	s_delay_alu instid0(VALU_DEP_3) | instskip(SKIP_1) | instid1(VALU_DEP_4)
	v_cmp_gt_u32_e64 s4, s14, v5
	v_cndmask_b32_e64 v26, v26, v27, s3
	v_cmp_ge_i32_e64 s5, v28, v29
	s_delay_alu instid0(VALU_DEP_4) | instskip(SKIP_1) | instid1(SALU_CYCLE_1)
	v_cmp_le_u32_e64 s6, s13, v7
	s_and_b32 s4, s4, s5
	s_or_b32 s4, s6, s4
	s_delay_alu instid0(SALU_CYCLE_1) | instskip(NEXT) | instid1(VALU_DEP_1)
	v_cndmask_b32_e64 v11, v7, v5, s4
	v_dual_cndmask_b32 v22, s13, v9, s4 :: v_dual_add_nc_u32 v11, 1, v11
	s_delay_alu instid0(VALU_DEP_1) | instskip(NEXT) | instid1(VALU_DEP_1)
	v_add_min_u32_e64 v22, v22, -1, v11
	v_dual_cndmask_b32 v5, v5, v11, s4 :: v_dual_lshlrev_b32 v22, 2, v22
	s_delay_alu instid0(VALU_DEP_1)
	v_cmp_gt_u32_e64 s5, s14, v5
	v_cndmask_b32_e64 v27, v28, v29, s4
	ds_load_b32 v22, v22
	s_wait_dscnt 0x0
	v_dual_cndmask_b32 v30, v22, v28, s4 :: v_dual_cndmask_b32 v31, v29, v22, s4
	v_cndmask_b32_e64 v7, v11, v7, s4
	s_delay_alu instid0(VALU_DEP_2) | instskip(NEXT) | instid1(VALU_DEP_2)
	v_cmp_ge_i32_e64 s6, v30, v31
	v_cmp_le_u32_e64 s7, s13, v7
	s_and_b32 s5, s5, s6
	s_delay_alu instid0(SALU_CYCLE_1) | instskip(SKIP_2) | instid1(VALU_DEP_1)
	s_or_b32 s5, s7, s5
	v_cndmask_b32_e64 v23, v15, v13, s0
	v_cndmask_b32_e64 v11, v7, v5, s5
	v_dual_cndmask_b32 v22, s13, v9, s5 :: v_dual_add_nc_u32 v11, 1, v11
	s_delay_alu instid0(VALU_DEP_1) | instskip(NEXT) | instid1(VALU_DEP_1)
	v_add_min_u32_e64 v22, v22, -1, v11
	v_lshlrev_b32_e32 v22, 2, v22
	ds_load_b32 v22, v22
	s_wait_dscnt 0x0
	v_dual_cndmask_b32 v5, v5, v11, s5 :: v_dual_cndmask_b32 v33, v31, v22, s5
	v_dual_cndmask_b32 v32, v22, v30, s5 :: v_dual_cndmask_b32 v7, v11, v7, s5
	s_delay_alu instid0(VALU_DEP_2) | instskip(SKIP_1) | instid1(VALU_DEP_3)
	v_cmp_gt_u32_e64 s6, s14, v5
	v_cndmask_b32_e64 v30, v30, v31, s5
	v_cmp_ge_i32_e64 s7, v32, v33
	s_delay_alu instid0(VALU_DEP_4) | instskip(SKIP_1) | instid1(SALU_CYCLE_1)
	v_cmp_le_u32_e64 s8, s13, v7
	s_and_b32 s6, s6, s7
	s_or_b32 s6, s8, s6
	s_delay_alu instid0(SALU_CYCLE_1) | instskip(SKIP_1) | instid1(VALU_DEP_2)
	v_cndmask_b32_e64 v11, v7, v5, s6
	v_cndmask_b32_e64 v22, s13, v9, s6
	v_dual_cndmask_b32 v31, v32, v33, s6 :: v_dual_add_nc_u32 v11, 1, v11
	s_delay_alu instid0(VALU_DEP_1) | instskip(NEXT) | instid1(VALU_DEP_1)
	v_add_min_u32_e64 v22, v22, -1, v11
	v_dual_cndmask_b32 v5, v5, v11, s6 :: v_dual_lshlrev_b32 v22, 2, v22
	s_delay_alu instid0(VALU_DEP_1) | instskip(SKIP_4) | instid1(VALU_DEP_2)
	v_cmp_gt_u32_e64 s7, s14, v5
	ds_load_b32 v22, v22
	s_wait_dscnt 0x0
	v_dual_cndmask_b32 v34, v22, v32, s6 :: v_dual_cndmask_b32 v35, v33, v22, s6
	v_cndmask_b32_e64 v7, v11, v7, s6
	v_cmp_ge_i32_e64 s8, v34, v35
	s_delay_alu instid0(VALU_DEP_2) | instskip(SKIP_1) | instid1(SALU_CYCLE_1)
	v_cmp_le_u32_e64 s9, s13, v7
	s_and_b32 s7, s7, s8
	s_or_b32 s7, s9, s7
	s_delay_alu instid0(SALU_CYCLE_1) | instskip(SKIP_1) | instid1(VALU_DEP_1)
	v_dual_cndmask_b32 v24, v19, v17, s1 :: v_dual_cndmask_b32 v28, v34, v35, s7
	v_cndmask_b32_e64 v11, v7, v5, s7
	v_dual_cndmask_b32 v9, s13, v9, s7 :: v_dual_add_nc_u32 v11, 1, v11
	s_delay_alu instid0(VALU_DEP_1) | instskip(NEXT) | instid1(VALU_DEP_1)
	v_add_min_u32_e64 v9, v9, -1, v11
	v_lshlrev_b32_e32 v9, 2, v9
	v_dual_cndmask_b32 v22, v3, v1, vcc_lo :: v_dual_cndmask_b32 v1, v5, v11, s7
	ds_load_b32 v9, v9
	v_cmp_gt_u32_e32 vcc_lo, s14, v1
	s_wait_dscnt 0x0
	v_dual_cndmask_b32 v3, v9, v34, s7 :: v_dual_cndmask_b32 v5, v35, v9, s7
	v_dual_cndmask_b32 v25, v25, v21, s2 :: v_dual_cndmask_b32 v7, v11, v7, s7
	s_delay_alu instid0(VALU_DEP_2) | instskip(NEXT) | instid1(VALU_DEP_2)
	v_cmp_ge_i32_e64 s0, v3, v5
	v_cmp_le_u32_e64 s1, s13, v7
	s_and_b32 s0, vcc_lo, s0
	s_delay_alu instid0(SALU_CYCLE_1)
	s_or_b32 vcc_lo, s1, s0
	v_cndmask_b32_e32 v29, v3, v5, vcc_lo
.LBB10_70:
	s_or_b32 exec_lo, exec_lo, s15
	v_mul_u32_u24_e32 v3, 40, v0
	v_mul_i32_i24_e32 v1, 0xffffffdc, v0
	s_mov_b32 s13, 0
	s_sub_co_i32 s2, s18, s12
	s_lshl_b64 s[0:1], s[12:13], 2
	s_cmp_gt_u32 s2, 0x9ff
	v_add_nc_u32_e32 v1, v3, v1
	s_add_nc_u64 s[0:1], s[10:11], s[0:1]
	s_barrier_signal -1
	s_barrier_wait -1
	ds_store_2addr_b64 v3, v[22:23], v[24:25] offset1:1
	ds_store_2addr_b64 v3, v[26:27], v[30:31] offset0:2 offset1:3
	ds_store_b64 v3, v[28:29] offset:32
	s_wait_dscnt 0x0
	s_cbranch_scc0 .LBB10_72
; %bb.71:
	s_barrier_signal -1
	s_barrier_wait -1
	ds_load_2addr_stride64_b32 v[24:25], v1 offset1:4
	ds_load_2addr_stride64_b32 v[26:27], v1 offset0:8 offset1:12
	ds_load_2addr_stride64_b32 v[28:29], v1 offset0:16 offset1:20
	;; [unrolled: 1-line block ×4, first 2 shown]
	s_mov_b32 s13, -1
	s_wait_dscnt 0x4
	s_clause 0x1
	global_store_b32 v0, v24, s[0:1] scale_offset
	global_store_b32 v0, v25, s[0:1] offset:1024 scale_offset
	s_wait_dscnt 0x3
	s_clause 0x1
	global_store_b32 v0, v26, s[0:1] offset:2048 scale_offset
	global_store_b32 v0, v27, s[0:1] offset:3072 scale_offset
	s_wait_dscnt 0x2
	s_clause 0x1
	global_store_b32 v0, v28, s[0:1] offset:4096 scale_offset
	global_store_b32 v0, v29, s[0:1] offset:5120 scale_offset
	s_wait_dscnt 0x1
	s_clause 0x1
	global_store_b32 v0, v30, s[0:1] offset:6144 scale_offset
	global_store_b32 v0, v31, s[0:1] offset:7168 scale_offset
	s_wait_dscnt 0x0
	global_store_b32 v0, v22, s[0:1] offset:8192 scale_offset
	s_cbranch_execz .LBB10_73
	s_branch .LBB10_84
.LBB10_72:
                                        ; implicit-def: $vgpr23
.LBB10_73:
	s_barrier_signal -1
	s_barrier_wait -1
	s_wait_storecnt 0x0
	s_wait_xcnt 0x1
	ds_load_2addr_stride64_b32 v[30:31], v1 offset0:4 offset1:8
	ds_load_2addr_stride64_b32 v[28:29], v1 offset0:12 offset1:16
	;; [unrolled: 1-line block ×4, first 2 shown]
	ds_load_b32 v23, v1 offset:9216
	v_mov_b32_e32 v5, 0
	s_mov_b32 s3, exec_lo
	s_delay_alu instid0(VALU_DEP_1)
	v_add_nc_u64_e32 v[4:5], s[0:1], v[4:5]
	s_wait_xcnt 0x0
	v_cmpx_gt_u32_e64 s2, v0
	s_cbranch_execnz .LBB10_87
; %bb.74:
	s_or_b32 exec_lo, exec_lo, s3
	s_delay_alu instid0(SALU_CYCLE_1)
	s_mov_b32 s3, exec_lo
	v_cmpx_gt_u32_e64 s2, v2
	s_cbranch_execnz .LBB10_88
.LBB10_75:
	s_or_b32 exec_lo, exec_lo, s3
	s_delay_alu instid0(SALU_CYCLE_1)
	s_mov_b32 s3, exec_lo
	v_cmpx_gt_u32_e64 s2, v6
	s_cbranch_execnz .LBB10_89
.LBB10_76:
	s_or_b32 exec_lo, exec_lo, s3
	s_delay_alu instid0(SALU_CYCLE_1)
	s_mov_b32 s3, exec_lo
	v_cmpx_gt_u32_e64 s2, v8
	s_cbranch_execnz .LBB10_90
.LBB10_77:
	s_or_b32 exec_lo, exec_lo, s3
	s_delay_alu instid0(SALU_CYCLE_1)
	s_mov_b32 s3, exec_lo
	v_cmpx_gt_u32_e64 s2, v10
	s_cbranch_execnz .LBB10_91
.LBB10_78:
	s_or_b32 exec_lo, exec_lo, s3
	s_delay_alu instid0(SALU_CYCLE_1)
	s_mov_b32 s3, exec_lo
	v_cmpx_gt_u32_e64 s2, v12
	s_cbranch_execnz .LBB10_92
.LBB10_79:
	s_or_b32 exec_lo, exec_lo, s3
	s_delay_alu instid0(SALU_CYCLE_1)
	s_mov_b32 s3, exec_lo
	v_cmpx_gt_u32_e64 s2, v14
	s_cbranch_execnz .LBB10_93
.LBB10_80:
	s_or_b32 exec_lo, exec_lo, s3
	s_delay_alu instid0(SALU_CYCLE_1)
	s_mov_b32 s3, exec_lo
	v_cmpx_gt_u32_e64 s2, v16
	s_cbranch_execnz .LBB10_94
.LBB10_81:
	s_or_b32 exec_lo, exec_lo, s3
	s_delay_alu instid0(SALU_CYCLE_1)
	s_mov_b32 s3, exec_lo
	v_cmpx_gt_u32_e64 s2, v18
	s_cbranch_execz .LBB10_83
.LBB10_82:
	s_wait_dscnt 0x1
	global_store_b32 v[4:5], v25, off offset:8192
.LBB10_83:
	s_wait_xcnt 0x0
	s_or_b32 exec_lo, exec_lo, s3
	v_cmp_gt_u32_e64 s13, s2, v20
.LBB10_84:
	s_wait_xcnt 0x0
	s_delay_alu instid0(VALU_DEP_1)
	s_and_saveexec_b32 s2, s13
	s_cbranch_execnz .LBB10_86
; %bb.85:
	s_endpgm
.LBB10_86:
	s_wait_dscnt 0x0
	global_store_b32 v0, v23, s[0:1] offset:9216 scale_offset
	s_endpgm
.LBB10_87:
	ds_load_b32 v1, v1
	s_wait_dscnt 0x0
	global_store_b32 v[4:5], v1, off
	s_wait_xcnt 0x0
	s_or_b32 exec_lo, exec_lo, s3
	s_delay_alu instid0(SALU_CYCLE_1)
	s_mov_b32 s3, exec_lo
	v_cmpx_gt_u32_e64 s2, v2
	s_cbranch_execz .LBB10_75
.LBB10_88:
	s_wait_dscnt 0x4
	global_store_b32 v[4:5], v30, off offset:1024
	s_wait_xcnt 0x0
	s_or_b32 exec_lo, exec_lo, s3
	s_delay_alu instid0(SALU_CYCLE_1)
	s_mov_b32 s3, exec_lo
	v_cmpx_gt_u32_e64 s2, v6
	s_cbranch_execz .LBB10_76
.LBB10_89:
	s_wait_dscnt 0x4
	global_store_b32 v[4:5], v31, off offset:2048
	s_wait_xcnt 0x0
	s_or_b32 exec_lo, exec_lo, s3
	s_delay_alu instid0(SALU_CYCLE_1)
	s_mov_b32 s3, exec_lo
	v_cmpx_gt_u32_e64 s2, v8
	s_cbranch_execz .LBB10_77
.LBB10_90:
	s_wait_dscnt 0x3
	global_store_b32 v[4:5], v28, off offset:3072
	s_wait_xcnt 0x0
	s_or_b32 exec_lo, exec_lo, s3
	s_delay_alu instid0(SALU_CYCLE_1)
	s_mov_b32 s3, exec_lo
	v_cmpx_gt_u32_e64 s2, v10
	s_cbranch_execz .LBB10_78
.LBB10_91:
	s_wait_dscnt 0x3
	global_store_b32 v[4:5], v29, off offset:4096
	s_wait_xcnt 0x0
	s_or_b32 exec_lo, exec_lo, s3
	s_delay_alu instid0(SALU_CYCLE_1)
	s_mov_b32 s3, exec_lo
	v_cmpx_gt_u32_e64 s2, v12
	s_cbranch_execz .LBB10_79
.LBB10_92:
	s_wait_dscnt 0x2
	global_store_b32 v[4:5], v26, off offset:5120
	s_wait_xcnt 0x0
	s_or_b32 exec_lo, exec_lo, s3
	s_delay_alu instid0(SALU_CYCLE_1)
	s_mov_b32 s3, exec_lo
	v_cmpx_gt_u32_e64 s2, v14
	s_cbranch_execz .LBB10_80
.LBB10_93:
	s_wait_dscnt 0x2
	global_store_b32 v[4:5], v27, off offset:6144
	s_wait_xcnt 0x0
	s_or_b32 exec_lo, exec_lo, s3
	s_delay_alu instid0(SALU_CYCLE_1)
	s_mov_b32 s3, exec_lo
	v_cmpx_gt_u32_e64 s2, v16
	s_cbranch_execz .LBB10_81
.LBB10_94:
	s_wait_dscnt 0x1
	global_store_b32 v[4:5], v24, off offset:7168
	s_wait_xcnt 0x0
	s_or_b32 exec_lo, exec_lo, s3
	s_delay_alu instid0(SALU_CYCLE_1)
	s_mov_b32 s3, exec_lo
	v_cmpx_gt_u32_e64 s2, v18
	s_cbranch_execnz .LBB10_82
	s_branch .LBB10_83
	.section	.rodata,"a",@progbits
	.p2align	6, 0x0
	.amdhsa_kernel _ZN7rocprim17ROCPRIM_400000_NS6detail17trampoline_kernelINS0_14default_configENS1_21merge_config_selectorIiNS0_10empty_typeEEEZNS1_10merge_implIS3_N6thrust23THRUST_200600_302600_NS6detail15normal_iteratorINS9_10device_ptrIKiEEEESF_NSB_INSC_IiEEEEPS5_SI_SI_NS9_4lessIiEEEE10hipError_tPvRmT0_T1_T2_T3_T4_T5_mmT6_P12ihipStream_tbEUlT_E0_NS1_11comp_targetILNS1_3genE0ELNS1_11target_archE4294967295ELNS1_3gpuE0ELNS1_3repE0EEENS1_30default_config_static_selectorELNS0_4arch9wavefront6targetE0EEEvSP_
		.amdhsa_group_segment_fixed_size 10256
		.amdhsa_private_segment_fixed_size 0
		.amdhsa_kernarg_size 88
		.amdhsa_user_sgpr_count 2
		.amdhsa_user_sgpr_dispatch_ptr 0
		.amdhsa_user_sgpr_queue_ptr 0
		.amdhsa_user_sgpr_kernarg_segment_ptr 1
		.amdhsa_user_sgpr_dispatch_id 0
		.amdhsa_user_sgpr_kernarg_preload_length 0
		.amdhsa_user_sgpr_kernarg_preload_offset 0
		.amdhsa_user_sgpr_private_segment_size 0
		.amdhsa_wavefront_size32 1
		.amdhsa_uses_dynamic_stack 0
		.amdhsa_enable_private_segment 0
		.amdhsa_system_sgpr_workgroup_id_x 1
		.amdhsa_system_sgpr_workgroup_id_y 0
		.amdhsa_system_sgpr_workgroup_id_z 0
		.amdhsa_system_sgpr_workgroup_info 0
		.amdhsa_system_vgpr_workitem_id 0
		.amdhsa_next_free_vgpr 36
		.amdhsa_next_free_sgpr 19
		.amdhsa_named_barrier_count 0
		.amdhsa_reserve_vcc 1
		.amdhsa_float_round_mode_32 0
		.amdhsa_float_round_mode_16_64 0
		.amdhsa_float_denorm_mode_32 3
		.amdhsa_float_denorm_mode_16_64 3
		.amdhsa_fp16_overflow 0
		.amdhsa_memory_ordered 1
		.amdhsa_forward_progress 1
		.amdhsa_inst_pref_size 32
		.amdhsa_round_robin_scheduling 0
		.amdhsa_exception_fp_ieee_invalid_op 0
		.amdhsa_exception_fp_denorm_src 0
		.amdhsa_exception_fp_ieee_div_zero 0
		.amdhsa_exception_fp_ieee_overflow 0
		.amdhsa_exception_fp_ieee_underflow 0
		.amdhsa_exception_fp_ieee_inexact 0
		.amdhsa_exception_int_div_zero 0
	.end_amdhsa_kernel
	.section	.text._ZN7rocprim17ROCPRIM_400000_NS6detail17trampoline_kernelINS0_14default_configENS1_21merge_config_selectorIiNS0_10empty_typeEEEZNS1_10merge_implIS3_N6thrust23THRUST_200600_302600_NS6detail15normal_iteratorINS9_10device_ptrIKiEEEESF_NSB_INSC_IiEEEEPS5_SI_SI_NS9_4lessIiEEEE10hipError_tPvRmT0_T1_T2_T3_T4_T5_mmT6_P12ihipStream_tbEUlT_E0_NS1_11comp_targetILNS1_3genE0ELNS1_11target_archE4294967295ELNS1_3gpuE0ELNS1_3repE0EEENS1_30default_config_static_selectorELNS0_4arch9wavefront6targetE0EEEvSP_,"axG",@progbits,_ZN7rocprim17ROCPRIM_400000_NS6detail17trampoline_kernelINS0_14default_configENS1_21merge_config_selectorIiNS0_10empty_typeEEEZNS1_10merge_implIS3_N6thrust23THRUST_200600_302600_NS6detail15normal_iteratorINS9_10device_ptrIKiEEEESF_NSB_INSC_IiEEEEPS5_SI_SI_NS9_4lessIiEEEE10hipError_tPvRmT0_T1_T2_T3_T4_T5_mmT6_P12ihipStream_tbEUlT_E0_NS1_11comp_targetILNS1_3genE0ELNS1_11target_archE4294967295ELNS1_3gpuE0ELNS1_3repE0EEENS1_30default_config_static_selectorELNS0_4arch9wavefront6targetE0EEEvSP_,comdat
.Lfunc_end10:
	.size	_ZN7rocprim17ROCPRIM_400000_NS6detail17trampoline_kernelINS0_14default_configENS1_21merge_config_selectorIiNS0_10empty_typeEEEZNS1_10merge_implIS3_N6thrust23THRUST_200600_302600_NS6detail15normal_iteratorINS9_10device_ptrIKiEEEESF_NSB_INSC_IiEEEEPS5_SI_SI_NS9_4lessIiEEEE10hipError_tPvRmT0_T1_T2_T3_T4_T5_mmT6_P12ihipStream_tbEUlT_E0_NS1_11comp_targetILNS1_3genE0ELNS1_11target_archE4294967295ELNS1_3gpuE0ELNS1_3repE0EEENS1_30default_config_static_selectorELNS0_4arch9wavefront6targetE0EEEvSP_, .Lfunc_end10-_ZN7rocprim17ROCPRIM_400000_NS6detail17trampoline_kernelINS0_14default_configENS1_21merge_config_selectorIiNS0_10empty_typeEEEZNS1_10merge_implIS3_N6thrust23THRUST_200600_302600_NS6detail15normal_iteratorINS9_10device_ptrIKiEEEESF_NSB_INSC_IiEEEEPS5_SI_SI_NS9_4lessIiEEEE10hipError_tPvRmT0_T1_T2_T3_T4_T5_mmT6_P12ihipStream_tbEUlT_E0_NS1_11comp_targetILNS1_3genE0ELNS1_11target_archE4294967295ELNS1_3gpuE0ELNS1_3repE0EEENS1_30default_config_static_selectorELNS0_4arch9wavefront6targetE0EEEvSP_
                                        ; -- End function
	.set _ZN7rocprim17ROCPRIM_400000_NS6detail17trampoline_kernelINS0_14default_configENS1_21merge_config_selectorIiNS0_10empty_typeEEEZNS1_10merge_implIS3_N6thrust23THRUST_200600_302600_NS6detail15normal_iteratorINS9_10device_ptrIKiEEEESF_NSB_INSC_IiEEEEPS5_SI_SI_NS9_4lessIiEEEE10hipError_tPvRmT0_T1_T2_T3_T4_T5_mmT6_P12ihipStream_tbEUlT_E0_NS1_11comp_targetILNS1_3genE0ELNS1_11target_archE4294967295ELNS1_3gpuE0ELNS1_3repE0EEENS1_30default_config_static_selectorELNS0_4arch9wavefront6targetE0EEEvSP_.num_vgpr, 36
	.set _ZN7rocprim17ROCPRIM_400000_NS6detail17trampoline_kernelINS0_14default_configENS1_21merge_config_selectorIiNS0_10empty_typeEEEZNS1_10merge_implIS3_N6thrust23THRUST_200600_302600_NS6detail15normal_iteratorINS9_10device_ptrIKiEEEESF_NSB_INSC_IiEEEEPS5_SI_SI_NS9_4lessIiEEEE10hipError_tPvRmT0_T1_T2_T3_T4_T5_mmT6_P12ihipStream_tbEUlT_E0_NS1_11comp_targetILNS1_3genE0ELNS1_11target_archE4294967295ELNS1_3gpuE0ELNS1_3repE0EEENS1_30default_config_static_selectorELNS0_4arch9wavefront6targetE0EEEvSP_.num_agpr, 0
	.set _ZN7rocprim17ROCPRIM_400000_NS6detail17trampoline_kernelINS0_14default_configENS1_21merge_config_selectorIiNS0_10empty_typeEEEZNS1_10merge_implIS3_N6thrust23THRUST_200600_302600_NS6detail15normal_iteratorINS9_10device_ptrIKiEEEESF_NSB_INSC_IiEEEEPS5_SI_SI_NS9_4lessIiEEEE10hipError_tPvRmT0_T1_T2_T3_T4_T5_mmT6_P12ihipStream_tbEUlT_E0_NS1_11comp_targetILNS1_3genE0ELNS1_11target_archE4294967295ELNS1_3gpuE0ELNS1_3repE0EEENS1_30default_config_static_selectorELNS0_4arch9wavefront6targetE0EEEvSP_.numbered_sgpr, 19
	.set _ZN7rocprim17ROCPRIM_400000_NS6detail17trampoline_kernelINS0_14default_configENS1_21merge_config_selectorIiNS0_10empty_typeEEEZNS1_10merge_implIS3_N6thrust23THRUST_200600_302600_NS6detail15normal_iteratorINS9_10device_ptrIKiEEEESF_NSB_INSC_IiEEEEPS5_SI_SI_NS9_4lessIiEEEE10hipError_tPvRmT0_T1_T2_T3_T4_T5_mmT6_P12ihipStream_tbEUlT_E0_NS1_11comp_targetILNS1_3genE0ELNS1_11target_archE4294967295ELNS1_3gpuE0ELNS1_3repE0EEENS1_30default_config_static_selectorELNS0_4arch9wavefront6targetE0EEEvSP_.num_named_barrier, 0
	.set _ZN7rocprim17ROCPRIM_400000_NS6detail17trampoline_kernelINS0_14default_configENS1_21merge_config_selectorIiNS0_10empty_typeEEEZNS1_10merge_implIS3_N6thrust23THRUST_200600_302600_NS6detail15normal_iteratorINS9_10device_ptrIKiEEEESF_NSB_INSC_IiEEEEPS5_SI_SI_NS9_4lessIiEEEE10hipError_tPvRmT0_T1_T2_T3_T4_T5_mmT6_P12ihipStream_tbEUlT_E0_NS1_11comp_targetILNS1_3genE0ELNS1_11target_archE4294967295ELNS1_3gpuE0ELNS1_3repE0EEENS1_30default_config_static_selectorELNS0_4arch9wavefront6targetE0EEEvSP_.private_seg_size, 0
	.set _ZN7rocprim17ROCPRIM_400000_NS6detail17trampoline_kernelINS0_14default_configENS1_21merge_config_selectorIiNS0_10empty_typeEEEZNS1_10merge_implIS3_N6thrust23THRUST_200600_302600_NS6detail15normal_iteratorINS9_10device_ptrIKiEEEESF_NSB_INSC_IiEEEEPS5_SI_SI_NS9_4lessIiEEEE10hipError_tPvRmT0_T1_T2_T3_T4_T5_mmT6_P12ihipStream_tbEUlT_E0_NS1_11comp_targetILNS1_3genE0ELNS1_11target_archE4294967295ELNS1_3gpuE0ELNS1_3repE0EEENS1_30default_config_static_selectorELNS0_4arch9wavefront6targetE0EEEvSP_.uses_vcc, 1
	.set _ZN7rocprim17ROCPRIM_400000_NS6detail17trampoline_kernelINS0_14default_configENS1_21merge_config_selectorIiNS0_10empty_typeEEEZNS1_10merge_implIS3_N6thrust23THRUST_200600_302600_NS6detail15normal_iteratorINS9_10device_ptrIKiEEEESF_NSB_INSC_IiEEEEPS5_SI_SI_NS9_4lessIiEEEE10hipError_tPvRmT0_T1_T2_T3_T4_T5_mmT6_P12ihipStream_tbEUlT_E0_NS1_11comp_targetILNS1_3genE0ELNS1_11target_archE4294967295ELNS1_3gpuE0ELNS1_3repE0EEENS1_30default_config_static_selectorELNS0_4arch9wavefront6targetE0EEEvSP_.uses_flat_scratch, 0
	.set _ZN7rocprim17ROCPRIM_400000_NS6detail17trampoline_kernelINS0_14default_configENS1_21merge_config_selectorIiNS0_10empty_typeEEEZNS1_10merge_implIS3_N6thrust23THRUST_200600_302600_NS6detail15normal_iteratorINS9_10device_ptrIKiEEEESF_NSB_INSC_IiEEEEPS5_SI_SI_NS9_4lessIiEEEE10hipError_tPvRmT0_T1_T2_T3_T4_T5_mmT6_P12ihipStream_tbEUlT_E0_NS1_11comp_targetILNS1_3genE0ELNS1_11target_archE4294967295ELNS1_3gpuE0ELNS1_3repE0EEENS1_30default_config_static_selectorELNS0_4arch9wavefront6targetE0EEEvSP_.has_dyn_sized_stack, 0
	.set _ZN7rocprim17ROCPRIM_400000_NS6detail17trampoline_kernelINS0_14default_configENS1_21merge_config_selectorIiNS0_10empty_typeEEEZNS1_10merge_implIS3_N6thrust23THRUST_200600_302600_NS6detail15normal_iteratorINS9_10device_ptrIKiEEEESF_NSB_INSC_IiEEEEPS5_SI_SI_NS9_4lessIiEEEE10hipError_tPvRmT0_T1_T2_T3_T4_T5_mmT6_P12ihipStream_tbEUlT_E0_NS1_11comp_targetILNS1_3genE0ELNS1_11target_archE4294967295ELNS1_3gpuE0ELNS1_3repE0EEENS1_30default_config_static_selectorELNS0_4arch9wavefront6targetE0EEEvSP_.has_recursion, 0
	.set _ZN7rocprim17ROCPRIM_400000_NS6detail17trampoline_kernelINS0_14default_configENS1_21merge_config_selectorIiNS0_10empty_typeEEEZNS1_10merge_implIS3_N6thrust23THRUST_200600_302600_NS6detail15normal_iteratorINS9_10device_ptrIKiEEEESF_NSB_INSC_IiEEEEPS5_SI_SI_NS9_4lessIiEEEE10hipError_tPvRmT0_T1_T2_T3_T4_T5_mmT6_P12ihipStream_tbEUlT_E0_NS1_11comp_targetILNS1_3genE0ELNS1_11target_archE4294967295ELNS1_3gpuE0ELNS1_3repE0EEENS1_30default_config_static_selectorELNS0_4arch9wavefront6targetE0EEEvSP_.has_indirect_call, 0
	.section	.AMDGPU.csdata,"",@progbits
; Kernel info:
; codeLenInByte = 4024
; TotalNumSgprs: 21
; NumVgprs: 36
; ScratchSize: 0
; MemoryBound: 0
; FloatMode: 240
; IeeeMode: 1
; LDSByteSize: 10256 bytes/workgroup (compile time only)
; SGPRBlocks: 0
; VGPRBlocks: 2
; NumSGPRsForWavesPerEU: 21
; NumVGPRsForWavesPerEU: 36
; NamedBarCnt: 0
; Occupancy: 16
; WaveLimiterHint : 1
; COMPUTE_PGM_RSRC2:SCRATCH_EN: 0
; COMPUTE_PGM_RSRC2:USER_SGPR: 2
; COMPUTE_PGM_RSRC2:TRAP_HANDLER: 0
; COMPUTE_PGM_RSRC2:TGID_X_EN: 1
; COMPUTE_PGM_RSRC2:TGID_Y_EN: 0
; COMPUTE_PGM_RSRC2:TGID_Z_EN: 0
; COMPUTE_PGM_RSRC2:TIDIG_COMP_CNT: 0
	.section	.text._ZN7rocprim17ROCPRIM_400000_NS6detail17trampoline_kernelINS0_14default_configENS1_21merge_config_selectorIiNS0_10empty_typeEEEZNS1_10merge_implIS3_N6thrust23THRUST_200600_302600_NS6detail15normal_iteratorINS9_10device_ptrIKiEEEESF_NSB_INSC_IiEEEEPS5_SI_SI_NS9_4lessIiEEEE10hipError_tPvRmT0_T1_T2_T3_T4_T5_mmT6_P12ihipStream_tbEUlT_E0_NS1_11comp_targetILNS1_3genE5ELNS1_11target_archE942ELNS1_3gpuE9ELNS1_3repE0EEENS1_30default_config_static_selectorELNS0_4arch9wavefront6targetE0EEEvSP_,"axG",@progbits,_ZN7rocprim17ROCPRIM_400000_NS6detail17trampoline_kernelINS0_14default_configENS1_21merge_config_selectorIiNS0_10empty_typeEEEZNS1_10merge_implIS3_N6thrust23THRUST_200600_302600_NS6detail15normal_iteratorINS9_10device_ptrIKiEEEESF_NSB_INSC_IiEEEEPS5_SI_SI_NS9_4lessIiEEEE10hipError_tPvRmT0_T1_T2_T3_T4_T5_mmT6_P12ihipStream_tbEUlT_E0_NS1_11comp_targetILNS1_3genE5ELNS1_11target_archE942ELNS1_3gpuE9ELNS1_3repE0EEENS1_30default_config_static_selectorELNS0_4arch9wavefront6targetE0EEEvSP_,comdat
	.protected	_ZN7rocprim17ROCPRIM_400000_NS6detail17trampoline_kernelINS0_14default_configENS1_21merge_config_selectorIiNS0_10empty_typeEEEZNS1_10merge_implIS3_N6thrust23THRUST_200600_302600_NS6detail15normal_iteratorINS9_10device_ptrIKiEEEESF_NSB_INSC_IiEEEEPS5_SI_SI_NS9_4lessIiEEEE10hipError_tPvRmT0_T1_T2_T3_T4_T5_mmT6_P12ihipStream_tbEUlT_E0_NS1_11comp_targetILNS1_3genE5ELNS1_11target_archE942ELNS1_3gpuE9ELNS1_3repE0EEENS1_30default_config_static_selectorELNS0_4arch9wavefront6targetE0EEEvSP_ ; -- Begin function _ZN7rocprim17ROCPRIM_400000_NS6detail17trampoline_kernelINS0_14default_configENS1_21merge_config_selectorIiNS0_10empty_typeEEEZNS1_10merge_implIS3_N6thrust23THRUST_200600_302600_NS6detail15normal_iteratorINS9_10device_ptrIKiEEEESF_NSB_INSC_IiEEEEPS5_SI_SI_NS9_4lessIiEEEE10hipError_tPvRmT0_T1_T2_T3_T4_T5_mmT6_P12ihipStream_tbEUlT_E0_NS1_11comp_targetILNS1_3genE5ELNS1_11target_archE942ELNS1_3gpuE9ELNS1_3repE0EEENS1_30default_config_static_selectorELNS0_4arch9wavefront6targetE0EEEvSP_
	.globl	_ZN7rocprim17ROCPRIM_400000_NS6detail17trampoline_kernelINS0_14default_configENS1_21merge_config_selectorIiNS0_10empty_typeEEEZNS1_10merge_implIS3_N6thrust23THRUST_200600_302600_NS6detail15normal_iteratorINS9_10device_ptrIKiEEEESF_NSB_INSC_IiEEEEPS5_SI_SI_NS9_4lessIiEEEE10hipError_tPvRmT0_T1_T2_T3_T4_T5_mmT6_P12ihipStream_tbEUlT_E0_NS1_11comp_targetILNS1_3genE5ELNS1_11target_archE942ELNS1_3gpuE9ELNS1_3repE0EEENS1_30default_config_static_selectorELNS0_4arch9wavefront6targetE0EEEvSP_
	.p2align	8
	.type	_ZN7rocprim17ROCPRIM_400000_NS6detail17trampoline_kernelINS0_14default_configENS1_21merge_config_selectorIiNS0_10empty_typeEEEZNS1_10merge_implIS3_N6thrust23THRUST_200600_302600_NS6detail15normal_iteratorINS9_10device_ptrIKiEEEESF_NSB_INSC_IiEEEEPS5_SI_SI_NS9_4lessIiEEEE10hipError_tPvRmT0_T1_T2_T3_T4_T5_mmT6_P12ihipStream_tbEUlT_E0_NS1_11comp_targetILNS1_3genE5ELNS1_11target_archE942ELNS1_3gpuE9ELNS1_3repE0EEENS1_30default_config_static_selectorELNS0_4arch9wavefront6targetE0EEEvSP_,@function
_ZN7rocprim17ROCPRIM_400000_NS6detail17trampoline_kernelINS0_14default_configENS1_21merge_config_selectorIiNS0_10empty_typeEEEZNS1_10merge_implIS3_N6thrust23THRUST_200600_302600_NS6detail15normal_iteratorINS9_10device_ptrIKiEEEESF_NSB_INSC_IiEEEEPS5_SI_SI_NS9_4lessIiEEEE10hipError_tPvRmT0_T1_T2_T3_T4_T5_mmT6_P12ihipStream_tbEUlT_E0_NS1_11comp_targetILNS1_3genE5ELNS1_11target_archE942ELNS1_3gpuE9ELNS1_3repE0EEENS1_30default_config_static_selectorELNS0_4arch9wavefront6targetE0EEEvSP_: ; @_ZN7rocprim17ROCPRIM_400000_NS6detail17trampoline_kernelINS0_14default_configENS1_21merge_config_selectorIiNS0_10empty_typeEEEZNS1_10merge_implIS3_N6thrust23THRUST_200600_302600_NS6detail15normal_iteratorINS9_10device_ptrIKiEEEESF_NSB_INSC_IiEEEEPS5_SI_SI_NS9_4lessIiEEEE10hipError_tPvRmT0_T1_T2_T3_T4_T5_mmT6_P12ihipStream_tbEUlT_E0_NS1_11comp_targetILNS1_3genE5ELNS1_11target_archE942ELNS1_3gpuE9ELNS1_3repE0EEENS1_30default_config_static_selectorELNS0_4arch9wavefront6targetE0EEEvSP_
; %bb.0:
	.section	.rodata,"a",@progbits
	.p2align	6, 0x0
	.amdhsa_kernel _ZN7rocprim17ROCPRIM_400000_NS6detail17trampoline_kernelINS0_14default_configENS1_21merge_config_selectorIiNS0_10empty_typeEEEZNS1_10merge_implIS3_N6thrust23THRUST_200600_302600_NS6detail15normal_iteratorINS9_10device_ptrIKiEEEESF_NSB_INSC_IiEEEEPS5_SI_SI_NS9_4lessIiEEEE10hipError_tPvRmT0_T1_T2_T3_T4_T5_mmT6_P12ihipStream_tbEUlT_E0_NS1_11comp_targetILNS1_3genE5ELNS1_11target_archE942ELNS1_3gpuE9ELNS1_3repE0EEENS1_30default_config_static_selectorELNS0_4arch9wavefront6targetE0EEEvSP_
		.amdhsa_group_segment_fixed_size 0
		.amdhsa_private_segment_fixed_size 0
		.amdhsa_kernarg_size 88
		.amdhsa_user_sgpr_count 2
		.amdhsa_user_sgpr_dispatch_ptr 0
		.amdhsa_user_sgpr_queue_ptr 0
		.amdhsa_user_sgpr_kernarg_segment_ptr 1
		.amdhsa_user_sgpr_dispatch_id 0
		.amdhsa_user_sgpr_kernarg_preload_length 0
		.amdhsa_user_sgpr_kernarg_preload_offset 0
		.amdhsa_user_sgpr_private_segment_size 0
		.amdhsa_wavefront_size32 1
		.amdhsa_uses_dynamic_stack 0
		.amdhsa_enable_private_segment 0
		.amdhsa_system_sgpr_workgroup_id_x 1
		.amdhsa_system_sgpr_workgroup_id_y 0
		.amdhsa_system_sgpr_workgroup_id_z 0
		.amdhsa_system_sgpr_workgroup_info 0
		.amdhsa_system_vgpr_workitem_id 0
		.amdhsa_next_free_vgpr 1
		.amdhsa_next_free_sgpr 1
		.amdhsa_named_barrier_count 0
		.amdhsa_reserve_vcc 0
		.amdhsa_float_round_mode_32 0
		.amdhsa_float_round_mode_16_64 0
		.amdhsa_float_denorm_mode_32 3
		.amdhsa_float_denorm_mode_16_64 3
		.amdhsa_fp16_overflow 0
		.amdhsa_memory_ordered 1
		.amdhsa_forward_progress 1
		.amdhsa_inst_pref_size 0
		.amdhsa_round_robin_scheduling 0
		.amdhsa_exception_fp_ieee_invalid_op 0
		.amdhsa_exception_fp_denorm_src 0
		.amdhsa_exception_fp_ieee_div_zero 0
		.amdhsa_exception_fp_ieee_overflow 0
		.amdhsa_exception_fp_ieee_underflow 0
		.amdhsa_exception_fp_ieee_inexact 0
		.amdhsa_exception_int_div_zero 0
	.end_amdhsa_kernel
	.section	.text._ZN7rocprim17ROCPRIM_400000_NS6detail17trampoline_kernelINS0_14default_configENS1_21merge_config_selectorIiNS0_10empty_typeEEEZNS1_10merge_implIS3_N6thrust23THRUST_200600_302600_NS6detail15normal_iteratorINS9_10device_ptrIKiEEEESF_NSB_INSC_IiEEEEPS5_SI_SI_NS9_4lessIiEEEE10hipError_tPvRmT0_T1_T2_T3_T4_T5_mmT6_P12ihipStream_tbEUlT_E0_NS1_11comp_targetILNS1_3genE5ELNS1_11target_archE942ELNS1_3gpuE9ELNS1_3repE0EEENS1_30default_config_static_selectorELNS0_4arch9wavefront6targetE0EEEvSP_,"axG",@progbits,_ZN7rocprim17ROCPRIM_400000_NS6detail17trampoline_kernelINS0_14default_configENS1_21merge_config_selectorIiNS0_10empty_typeEEEZNS1_10merge_implIS3_N6thrust23THRUST_200600_302600_NS6detail15normal_iteratorINS9_10device_ptrIKiEEEESF_NSB_INSC_IiEEEEPS5_SI_SI_NS9_4lessIiEEEE10hipError_tPvRmT0_T1_T2_T3_T4_T5_mmT6_P12ihipStream_tbEUlT_E0_NS1_11comp_targetILNS1_3genE5ELNS1_11target_archE942ELNS1_3gpuE9ELNS1_3repE0EEENS1_30default_config_static_selectorELNS0_4arch9wavefront6targetE0EEEvSP_,comdat
.Lfunc_end11:
	.size	_ZN7rocprim17ROCPRIM_400000_NS6detail17trampoline_kernelINS0_14default_configENS1_21merge_config_selectorIiNS0_10empty_typeEEEZNS1_10merge_implIS3_N6thrust23THRUST_200600_302600_NS6detail15normal_iteratorINS9_10device_ptrIKiEEEESF_NSB_INSC_IiEEEEPS5_SI_SI_NS9_4lessIiEEEE10hipError_tPvRmT0_T1_T2_T3_T4_T5_mmT6_P12ihipStream_tbEUlT_E0_NS1_11comp_targetILNS1_3genE5ELNS1_11target_archE942ELNS1_3gpuE9ELNS1_3repE0EEENS1_30default_config_static_selectorELNS0_4arch9wavefront6targetE0EEEvSP_, .Lfunc_end11-_ZN7rocprim17ROCPRIM_400000_NS6detail17trampoline_kernelINS0_14default_configENS1_21merge_config_selectorIiNS0_10empty_typeEEEZNS1_10merge_implIS3_N6thrust23THRUST_200600_302600_NS6detail15normal_iteratorINS9_10device_ptrIKiEEEESF_NSB_INSC_IiEEEEPS5_SI_SI_NS9_4lessIiEEEE10hipError_tPvRmT0_T1_T2_T3_T4_T5_mmT6_P12ihipStream_tbEUlT_E0_NS1_11comp_targetILNS1_3genE5ELNS1_11target_archE942ELNS1_3gpuE9ELNS1_3repE0EEENS1_30default_config_static_selectorELNS0_4arch9wavefront6targetE0EEEvSP_
                                        ; -- End function
	.set _ZN7rocprim17ROCPRIM_400000_NS6detail17trampoline_kernelINS0_14default_configENS1_21merge_config_selectorIiNS0_10empty_typeEEEZNS1_10merge_implIS3_N6thrust23THRUST_200600_302600_NS6detail15normal_iteratorINS9_10device_ptrIKiEEEESF_NSB_INSC_IiEEEEPS5_SI_SI_NS9_4lessIiEEEE10hipError_tPvRmT0_T1_T2_T3_T4_T5_mmT6_P12ihipStream_tbEUlT_E0_NS1_11comp_targetILNS1_3genE5ELNS1_11target_archE942ELNS1_3gpuE9ELNS1_3repE0EEENS1_30default_config_static_selectorELNS0_4arch9wavefront6targetE0EEEvSP_.num_vgpr, 0
	.set _ZN7rocprim17ROCPRIM_400000_NS6detail17trampoline_kernelINS0_14default_configENS1_21merge_config_selectorIiNS0_10empty_typeEEEZNS1_10merge_implIS3_N6thrust23THRUST_200600_302600_NS6detail15normal_iteratorINS9_10device_ptrIKiEEEESF_NSB_INSC_IiEEEEPS5_SI_SI_NS9_4lessIiEEEE10hipError_tPvRmT0_T1_T2_T3_T4_T5_mmT6_P12ihipStream_tbEUlT_E0_NS1_11comp_targetILNS1_3genE5ELNS1_11target_archE942ELNS1_3gpuE9ELNS1_3repE0EEENS1_30default_config_static_selectorELNS0_4arch9wavefront6targetE0EEEvSP_.num_agpr, 0
	.set _ZN7rocprim17ROCPRIM_400000_NS6detail17trampoline_kernelINS0_14default_configENS1_21merge_config_selectorIiNS0_10empty_typeEEEZNS1_10merge_implIS3_N6thrust23THRUST_200600_302600_NS6detail15normal_iteratorINS9_10device_ptrIKiEEEESF_NSB_INSC_IiEEEEPS5_SI_SI_NS9_4lessIiEEEE10hipError_tPvRmT0_T1_T2_T3_T4_T5_mmT6_P12ihipStream_tbEUlT_E0_NS1_11comp_targetILNS1_3genE5ELNS1_11target_archE942ELNS1_3gpuE9ELNS1_3repE0EEENS1_30default_config_static_selectorELNS0_4arch9wavefront6targetE0EEEvSP_.numbered_sgpr, 0
	.set _ZN7rocprim17ROCPRIM_400000_NS6detail17trampoline_kernelINS0_14default_configENS1_21merge_config_selectorIiNS0_10empty_typeEEEZNS1_10merge_implIS3_N6thrust23THRUST_200600_302600_NS6detail15normal_iteratorINS9_10device_ptrIKiEEEESF_NSB_INSC_IiEEEEPS5_SI_SI_NS9_4lessIiEEEE10hipError_tPvRmT0_T1_T2_T3_T4_T5_mmT6_P12ihipStream_tbEUlT_E0_NS1_11comp_targetILNS1_3genE5ELNS1_11target_archE942ELNS1_3gpuE9ELNS1_3repE0EEENS1_30default_config_static_selectorELNS0_4arch9wavefront6targetE0EEEvSP_.num_named_barrier, 0
	.set _ZN7rocprim17ROCPRIM_400000_NS6detail17trampoline_kernelINS0_14default_configENS1_21merge_config_selectorIiNS0_10empty_typeEEEZNS1_10merge_implIS3_N6thrust23THRUST_200600_302600_NS6detail15normal_iteratorINS9_10device_ptrIKiEEEESF_NSB_INSC_IiEEEEPS5_SI_SI_NS9_4lessIiEEEE10hipError_tPvRmT0_T1_T2_T3_T4_T5_mmT6_P12ihipStream_tbEUlT_E0_NS1_11comp_targetILNS1_3genE5ELNS1_11target_archE942ELNS1_3gpuE9ELNS1_3repE0EEENS1_30default_config_static_selectorELNS0_4arch9wavefront6targetE0EEEvSP_.private_seg_size, 0
	.set _ZN7rocprim17ROCPRIM_400000_NS6detail17trampoline_kernelINS0_14default_configENS1_21merge_config_selectorIiNS0_10empty_typeEEEZNS1_10merge_implIS3_N6thrust23THRUST_200600_302600_NS6detail15normal_iteratorINS9_10device_ptrIKiEEEESF_NSB_INSC_IiEEEEPS5_SI_SI_NS9_4lessIiEEEE10hipError_tPvRmT0_T1_T2_T3_T4_T5_mmT6_P12ihipStream_tbEUlT_E0_NS1_11comp_targetILNS1_3genE5ELNS1_11target_archE942ELNS1_3gpuE9ELNS1_3repE0EEENS1_30default_config_static_selectorELNS0_4arch9wavefront6targetE0EEEvSP_.uses_vcc, 0
	.set _ZN7rocprim17ROCPRIM_400000_NS6detail17trampoline_kernelINS0_14default_configENS1_21merge_config_selectorIiNS0_10empty_typeEEEZNS1_10merge_implIS3_N6thrust23THRUST_200600_302600_NS6detail15normal_iteratorINS9_10device_ptrIKiEEEESF_NSB_INSC_IiEEEEPS5_SI_SI_NS9_4lessIiEEEE10hipError_tPvRmT0_T1_T2_T3_T4_T5_mmT6_P12ihipStream_tbEUlT_E0_NS1_11comp_targetILNS1_3genE5ELNS1_11target_archE942ELNS1_3gpuE9ELNS1_3repE0EEENS1_30default_config_static_selectorELNS0_4arch9wavefront6targetE0EEEvSP_.uses_flat_scratch, 0
	.set _ZN7rocprim17ROCPRIM_400000_NS6detail17trampoline_kernelINS0_14default_configENS1_21merge_config_selectorIiNS0_10empty_typeEEEZNS1_10merge_implIS3_N6thrust23THRUST_200600_302600_NS6detail15normal_iteratorINS9_10device_ptrIKiEEEESF_NSB_INSC_IiEEEEPS5_SI_SI_NS9_4lessIiEEEE10hipError_tPvRmT0_T1_T2_T3_T4_T5_mmT6_P12ihipStream_tbEUlT_E0_NS1_11comp_targetILNS1_3genE5ELNS1_11target_archE942ELNS1_3gpuE9ELNS1_3repE0EEENS1_30default_config_static_selectorELNS0_4arch9wavefront6targetE0EEEvSP_.has_dyn_sized_stack, 0
	.set _ZN7rocprim17ROCPRIM_400000_NS6detail17trampoline_kernelINS0_14default_configENS1_21merge_config_selectorIiNS0_10empty_typeEEEZNS1_10merge_implIS3_N6thrust23THRUST_200600_302600_NS6detail15normal_iteratorINS9_10device_ptrIKiEEEESF_NSB_INSC_IiEEEEPS5_SI_SI_NS9_4lessIiEEEE10hipError_tPvRmT0_T1_T2_T3_T4_T5_mmT6_P12ihipStream_tbEUlT_E0_NS1_11comp_targetILNS1_3genE5ELNS1_11target_archE942ELNS1_3gpuE9ELNS1_3repE0EEENS1_30default_config_static_selectorELNS0_4arch9wavefront6targetE0EEEvSP_.has_recursion, 0
	.set _ZN7rocprim17ROCPRIM_400000_NS6detail17trampoline_kernelINS0_14default_configENS1_21merge_config_selectorIiNS0_10empty_typeEEEZNS1_10merge_implIS3_N6thrust23THRUST_200600_302600_NS6detail15normal_iteratorINS9_10device_ptrIKiEEEESF_NSB_INSC_IiEEEEPS5_SI_SI_NS9_4lessIiEEEE10hipError_tPvRmT0_T1_T2_T3_T4_T5_mmT6_P12ihipStream_tbEUlT_E0_NS1_11comp_targetILNS1_3genE5ELNS1_11target_archE942ELNS1_3gpuE9ELNS1_3repE0EEENS1_30default_config_static_selectorELNS0_4arch9wavefront6targetE0EEEvSP_.has_indirect_call, 0
	.section	.AMDGPU.csdata,"",@progbits
; Kernel info:
; codeLenInByte = 0
; TotalNumSgprs: 0
; NumVgprs: 0
; ScratchSize: 0
; MemoryBound: 0
; FloatMode: 240
; IeeeMode: 1
; LDSByteSize: 0 bytes/workgroup (compile time only)
; SGPRBlocks: 0
; VGPRBlocks: 0
; NumSGPRsForWavesPerEU: 1
; NumVGPRsForWavesPerEU: 1
; NamedBarCnt: 0
; Occupancy: 16
; WaveLimiterHint : 0
; COMPUTE_PGM_RSRC2:SCRATCH_EN: 0
; COMPUTE_PGM_RSRC2:USER_SGPR: 2
; COMPUTE_PGM_RSRC2:TRAP_HANDLER: 0
; COMPUTE_PGM_RSRC2:TGID_X_EN: 1
; COMPUTE_PGM_RSRC2:TGID_Y_EN: 0
; COMPUTE_PGM_RSRC2:TGID_Z_EN: 0
; COMPUTE_PGM_RSRC2:TIDIG_COMP_CNT: 0
	.section	.text._ZN7rocprim17ROCPRIM_400000_NS6detail17trampoline_kernelINS0_14default_configENS1_21merge_config_selectorIiNS0_10empty_typeEEEZNS1_10merge_implIS3_N6thrust23THRUST_200600_302600_NS6detail15normal_iteratorINS9_10device_ptrIKiEEEESF_NSB_INSC_IiEEEEPS5_SI_SI_NS9_4lessIiEEEE10hipError_tPvRmT0_T1_T2_T3_T4_T5_mmT6_P12ihipStream_tbEUlT_E0_NS1_11comp_targetILNS1_3genE4ELNS1_11target_archE910ELNS1_3gpuE8ELNS1_3repE0EEENS1_30default_config_static_selectorELNS0_4arch9wavefront6targetE0EEEvSP_,"axG",@progbits,_ZN7rocprim17ROCPRIM_400000_NS6detail17trampoline_kernelINS0_14default_configENS1_21merge_config_selectorIiNS0_10empty_typeEEEZNS1_10merge_implIS3_N6thrust23THRUST_200600_302600_NS6detail15normal_iteratorINS9_10device_ptrIKiEEEESF_NSB_INSC_IiEEEEPS5_SI_SI_NS9_4lessIiEEEE10hipError_tPvRmT0_T1_T2_T3_T4_T5_mmT6_P12ihipStream_tbEUlT_E0_NS1_11comp_targetILNS1_3genE4ELNS1_11target_archE910ELNS1_3gpuE8ELNS1_3repE0EEENS1_30default_config_static_selectorELNS0_4arch9wavefront6targetE0EEEvSP_,comdat
	.protected	_ZN7rocprim17ROCPRIM_400000_NS6detail17trampoline_kernelINS0_14default_configENS1_21merge_config_selectorIiNS0_10empty_typeEEEZNS1_10merge_implIS3_N6thrust23THRUST_200600_302600_NS6detail15normal_iteratorINS9_10device_ptrIKiEEEESF_NSB_INSC_IiEEEEPS5_SI_SI_NS9_4lessIiEEEE10hipError_tPvRmT0_T1_T2_T3_T4_T5_mmT6_P12ihipStream_tbEUlT_E0_NS1_11comp_targetILNS1_3genE4ELNS1_11target_archE910ELNS1_3gpuE8ELNS1_3repE0EEENS1_30default_config_static_selectorELNS0_4arch9wavefront6targetE0EEEvSP_ ; -- Begin function _ZN7rocprim17ROCPRIM_400000_NS6detail17trampoline_kernelINS0_14default_configENS1_21merge_config_selectorIiNS0_10empty_typeEEEZNS1_10merge_implIS3_N6thrust23THRUST_200600_302600_NS6detail15normal_iteratorINS9_10device_ptrIKiEEEESF_NSB_INSC_IiEEEEPS5_SI_SI_NS9_4lessIiEEEE10hipError_tPvRmT0_T1_T2_T3_T4_T5_mmT6_P12ihipStream_tbEUlT_E0_NS1_11comp_targetILNS1_3genE4ELNS1_11target_archE910ELNS1_3gpuE8ELNS1_3repE0EEENS1_30default_config_static_selectorELNS0_4arch9wavefront6targetE0EEEvSP_
	.globl	_ZN7rocprim17ROCPRIM_400000_NS6detail17trampoline_kernelINS0_14default_configENS1_21merge_config_selectorIiNS0_10empty_typeEEEZNS1_10merge_implIS3_N6thrust23THRUST_200600_302600_NS6detail15normal_iteratorINS9_10device_ptrIKiEEEESF_NSB_INSC_IiEEEEPS5_SI_SI_NS9_4lessIiEEEE10hipError_tPvRmT0_T1_T2_T3_T4_T5_mmT6_P12ihipStream_tbEUlT_E0_NS1_11comp_targetILNS1_3genE4ELNS1_11target_archE910ELNS1_3gpuE8ELNS1_3repE0EEENS1_30default_config_static_selectorELNS0_4arch9wavefront6targetE0EEEvSP_
	.p2align	8
	.type	_ZN7rocprim17ROCPRIM_400000_NS6detail17trampoline_kernelINS0_14default_configENS1_21merge_config_selectorIiNS0_10empty_typeEEEZNS1_10merge_implIS3_N6thrust23THRUST_200600_302600_NS6detail15normal_iteratorINS9_10device_ptrIKiEEEESF_NSB_INSC_IiEEEEPS5_SI_SI_NS9_4lessIiEEEE10hipError_tPvRmT0_T1_T2_T3_T4_T5_mmT6_P12ihipStream_tbEUlT_E0_NS1_11comp_targetILNS1_3genE4ELNS1_11target_archE910ELNS1_3gpuE8ELNS1_3repE0EEENS1_30default_config_static_selectorELNS0_4arch9wavefront6targetE0EEEvSP_,@function
_ZN7rocprim17ROCPRIM_400000_NS6detail17trampoline_kernelINS0_14default_configENS1_21merge_config_selectorIiNS0_10empty_typeEEEZNS1_10merge_implIS3_N6thrust23THRUST_200600_302600_NS6detail15normal_iteratorINS9_10device_ptrIKiEEEESF_NSB_INSC_IiEEEEPS5_SI_SI_NS9_4lessIiEEEE10hipError_tPvRmT0_T1_T2_T3_T4_T5_mmT6_P12ihipStream_tbEUlT_E0_NS1_11comp_targetILNS1_3genE4ELNS1_11target_archE910ELNS1_3gpuE8ELNS1_3repE0EEENS1_30default_config_static_selectorELNS0_4arch9wavefront6targetE0EEEvSP_: ; @_ZN7rocprim17ROCPRIM_400000_NS6detail17trampoline_kernelINS0_14default_configENS1_21merge_config_selectorIiNS0_10empty_typeEEEZNS1_10merge_implIS3_N6thrust23THRUST_200600_302600_NS6detail15normal_iteratorINS9_10device_ptrIKiEEEESF_NSB_INSC_IiEEEEPS5_SI_SI_NS9_4lessIiEEEE10hipError_tPvRmT0_T1_T2_T3_T4_T5_mmT6_P12ihipStream_tbEUlT_E0_NS1_11comp_targetILNS1_3genE4ELNS1_11target_archE910ELNS1_3gpuE8ELNS1_3repE0EEENS1_30default_config_static_selectorELNS0_4arch9wavefront6targetE0EEEvSP_
; %bb.0:
	.section	.rodata,"a",@progbits
	.p2align	6, 0x0
	.amdhsa_kernel _ZN7rocprim17ROCPRIM_400000_NS6detail17trampoline_kernelINS0_14default_configENS1_21merge_config_selectorIiNS0_10empty_typeEEEZNS1_10merge_implIS3_N6thrust23THRUST_200600_302600_NS6detail15normal_iteratorINS9_10device_ptrIKiEEEESF_NSB_INSC_IiEEEEPS5_SI_SI_NS9_4lessIiEEEE10hipError_tPvRmT0_T1_T2_T3_T4_T5_mmT6_P12ihipStream_tbEUlT_E0_NS1_11comp_targetILNS1_3genE4ELNS1_11target_archE910ELNS1_3gpuE8ELNS1_3repE0EEENS1_30default_config_static_selectorELNS0_4arch9wavefront6targetE0EEEvSP_
		.amdhsa_group_segment_fixed_size 0
		.amdhsa_private_segment_fixed_size 0
		.amdhsa_kernarg_size 88
		.amdhsa_user_sgpr_count 2
		.amdhsa_user_sgpr_dispatch_ptr 0
		.amdhsa_user_sgpr_queue_ptr 0
		.amdhsa_user_sgpr_kernarg_segment_ptr 1
		.amdhsa_user_sgpr_dispatch_id 0
		.amdhsa_user_sgpr_kernarg_preload_length 0
		.amdhsa_user_sgpr_kernarg_preload_offset 0
		.amdhsa_user_sgpr_private_segment_size 0
		.amdhsa_wavefront_size32 1
		.amdhsa_uses_dynamic_stack 0
		.amdhsa_enable_private_segment 0
		.amdhsa_system_sgpr_workgroup_id_x 1
		.amdhsa_system_sgpr_workgroup_id_y 0
		.amdhsa_system_sgpr_workgroup_id_z 0
		.amdhsa_system_sgpr_workgroup_info 0
		.amdhsa_system_vgpr_workitem_id 0
		.amdhsa_next_free_vgpr 1
		.amdhsa_next_free_sgpr 1
		.amdhsa_named_barrier_count 0
		.amdhsa_reserve_vcc 0
		.amdhsa_float_round_mode_32 0
		.amdhsa_float_round_mode_16_64 0
		.amdhsa_float_denorm_mode_32 3
		.amdhsa_float_denorm_mode_16_64 3
		.amdhsa_fp16_overflow 0
		.amdhsa_memory_ordered 1
		.amdhsa_forward_progress 1
		.amdhsa_inst_pref_size 0
		.amdhsa_round_robin_scheduling 0
		.amdhsa_exception_fp_ieee_invalid_op 0
		.amdhsa_exception_fp_denorm_src 0
		.amdhsa_exception_fp_ieee_div_zero 0
		.amdhsa_exception_fp_ieee_overflow 0
		.amdhsa_exception_fp_ieee_underflow 0
		.amdhsa_exception_fp_ieee_inexact 0
		.amdhsa_exception_int_div_zero 0
	.end_amdhsa_kernel
	.section	.text._ZN7rocprim17ROCPRIM_400000_NS6detail17trampoline_kernelINS0_14default_configENS1_21merge_config_selectorIiNS0_10empty_typeEEEZNS1_10merge_implIS3_N6thrust23THRUST_200600_302600_NS6detail15normal_iteratorINS9_10device_ptrIKiEEEESF_NSB_INSC_IiEEEEPS5_SI_SI_NS9_4lessIiEEEE10hipError_tPvRmT0_T1_T2_T3_T4_T5_mmT6_P12ihipStream_tbEUlT_E0_NS1_11comp_targetILNS1_3genE4ELNS1_11target_archE910ELNS1_3gpuE8ELNS1_3repE0EEENS1_30default_config_static_selectorELNS0_4arch9wavefront6targetE0EEEvSP_,"axG",@progbits,_ZN7rocprim17ROCPRIM_400000_NS6detail17trampoline_kernelINS0_14default_configENS1_21merge_config_selectorIiNS0_10empty_typeEEEZNS1_10merge_implIS3_N6thrust23THRUST_200600_302600_NS6detail15normal_iteratorINS9_10device_ptrIKiEEEESF_NSB_INSC_IiEEEEPS5_SI_SI_NS9_4lessIiEEEE10hipError_tPvRmT0_T1_T2_T3_T4_T5_mmT6_P12ihipStream_tbEUlT_E0_NS1_11comp_targetILNS1_3genE4ELNS1_11target_archE910ELNS1_3gpuE8ELNS1_3repE0EEENS1_30default_config_static_selectorELNS0_4arch9wavefront6targetE0EEEvSP_,comdat
.Lfunc_end12:
	.size	_ZN7rocprim17ROCPRIM_400000_NS6detail17trampoline_kernelINS0_14default_configENS1_21merge_config_selectorIiNS0_10empty_typeEEEZNS1_10merge_implIS3_N6thrust23THRUST_200600_302600_NS6detail15normal_iteratorINS9_10device_ptrIKiEEEESF_NSB_INSC_IiEEEEPS5_SI_SI_NS9_4lessIiEEEE10hipError_tPvRmT0_T1_T2_T3_T4_T5_mmT6_P12ihipStream_tbEUlT_E0_NS1_11comp_targetILNS1_3genE4ELNS1_11target_archE910ELNS1_3gpuE8ELNS1_3repE0EEENS1_30default_config_static_selectorELNS0_4arch9wavefront6targetE0EEEvSP_, .Lfunc_end12-_ZN7rocprim17ROCPRIM_400000_NS6detail17trampoline_kernelINS0_14default_configENS1_21merge_config_selectorIiNS0_10empty_typeEEEZNS1_10merge_implIS3_N6thrust23THRUST_200600_302600_NS6detail15normal_iteratorINS9_10device_ptrIKiEEEESF_NSB_INSC_IiEEEEPS5_SI_SI_NS9_4lessIiEEEE10hipError_tPvRmT0_T1_T2_T3_T4_T5_mmT6_P12ihipStream_tbEUlT_E0_NS1_11comp_targetILNS1_3genE4ELNS1_11target_archE910ELNS1_3gpuE8ELNS1_3repE0EEENS1_30default_config_static_selectorELNS0_4arch9wavefront6targetE0EEEvSP_
                                        ; -- End function
	.set _ZN7rocprim17ROCPRIM_400000_NS6detail17trampoline_kernelINS0_14default_configENS1_21merge_config_selectorIiNS0_10empty_typeEEEZNS1_10merge_implIS3_N6thrust23THRUST_200600_302600_NS6detail15normal_iteratorINS9_10device_ptrIKiEEEESF_NSB_INSC_IiEEEEPS5_SI_SI_NS9_4lessIiEEEE10hipError_tPvRmT0_T1_T2_T3_T4_T5_mmT6_P12ihipStream_tbEUlT_E0_NS1_11comp_targetILNS1_3genE4ELNS1_11target_archE910ELNS1_3gpuE8ELNS1_3repE0EEENS1_30default_config_static_selectorELNS0_4arch9wavefront6targetE0EEEvSP_.num_vgpr, 0
	.set _ZN7rocprim17ROCPRIM_400000_NS6detail17trampoline_kernelINS0_14default_configENS1_21merge_config_selectorIiNS0_10empty_typeEEEZNS1_10merge_implIS3_N6thrust23THRUST_200600_302600_NS6detail15normal_iteratorINS9_10device_ptrIKiEEEESF_NSB_INSC_IiEEEEPS5_SI_SI_NS9_4lessIiEEEE10hipError_tPvRmT0_T1_T2_T3_T4_T5_mmT6_P12ihipStream_tbEUlT_E0_NS1_11comp_targetILNS1_3genE4ELNS1_11target_archE910ELNS1_3gpuE8ELNS1_3repE0EEENS1_30default_config_static_selectorELNS0_4arch9wavefront6targetE0EEEvSP_.num_agpr, 0
	.set _ZN7rocprim17ROCPRIM_400000_NS6detail17trampoline_kernelINS0_14default_configENS1_21merge_config_selectorIiNS0_10empty_typeEEEZNS1_10merge_implIS3_N6thrust23THRUST_200600_302600_NS6detail15normal_iteratorINS9_10device_ptrIKiEEEESF_NSB_INSC_IiEEEEPS5_SI_SI_NS9_4lessIiEEEE10hipError_tPvRmT0_T1_T2_T3_T4_T5_mmT6_P12ihipStream_tbEUlT_E0_NS1_11comp_targetILNS1_3genE4ELNS1_11target_archE910ELNS1_3gpuE8ELNS1_3repE0EEENS1_30default_config_static_selectorELNS0_4arch9wavefront6targetE0EEEvSP_.numbered_sgpr, 0
	.set _ZN7rocprim17ROCPRIM_400000_NS6detail17trampoline_kernelINS0_14default_configENS1_21merge_config_selectorIiNS0_10empty_typeEEEZNS1_10merge_implIS3_N6thrust23THRUST_200600_302600_NS6detail15normal_iteratorINS9_10device_ptrIKiEEEESF_NSB_INSC_IiEEEEPS5_SI_SI_NS9_4lessIiEEEE10hipError_tPvRmT0_T1_T2_T3_T4_T5_mmT6_P12ihipStream_tbEUlT_E0_NS1_11comp_targetILNS1_3genE4ELNS1_11target_archE910ELNS1_3gpuE8ELNS1_3repE0EEENS1_30default_config_static_selectorELNS0_4arch9wavefront6targetE0EEEvSP_.num_named_barrier, 0
	.set _ZN7rocprim17ROCPRIM_400000_NS6detail17trampoline_kernelINS0_14default_configENS1_21merge_config_selectorIiNS0_10empty_typeEEEZNS1_10merge_implIS3_N6thrust23THRUST_200600_302600_NS6detail15normal_iteratorINS9_10device_ptrIKiEEEESF_NSB_INSC_IiEEEEPS5_SI_SI_NS9_4lessIiEEEE10hipError_tPvRmT0_T1_T2_T3_T4_T5_mmT6_P12ihipStream_tbEUlT_E0_NS1_11comp_targetILNS1_3genE4ELNS1_11target_archE910ELNS1_3gpuE8ELNS1_3repE0EEENS1_30default_config_static_selectorELNS0_4arch9wavefront6targetE0EEEvSP_.private_seg_size, 0
	.set _ZN7rocprim17ROCPRIM_400000_NS6detail17trampoline_kernelINS0_14default_configENS1_21merge_config_selectorIiNS0_10empty_typeEEEZNS1_10merge_implIS3_N6thrust23THRUST_200600_302600_NS6detail15normal_iteratorINS9_10device_ptrIKiEEEESF_NSB_INSC_IiEEEEPS5_SI_SI_NS9_4lessIiEEEE10hipError_tPvRmT0_T1_T2_T3_T4_T5_mmT6_P12ihipStream_tbEUlT_E0_NS1_11comp_targetILNS1_3genE4ELNS1_11target_archE910ELNS1_3gpuE8ELNS1_3repE0EEENS1_30default_config_static_selectorELNS0_4arch9wavefront6targetE0EEEvSP_.uses_vcc, 0
	.set _ZN7rocprim17ROCPRIM_400000_NS6detail17trampoline_kernelINS0_14default_configENS1_21merge_config_selectorIiNS0_10empty_typeEEEZNS1_10merge_implIS3_N6thrust23THRUST_200600_302600_NS6detail15normal_iteratorINS9_10device_ptrIKiEEEESF_NSB_INSC_IiEEEEPS5_SI_SI_NS9_4lessIiEEEE10hipError_tPvRmT0_T1_T2_T3_T4_T5_mmT6_P12ihipStream_tbEUlT_E0_NS1_11comp_targetILNS1_3genE4ELNS1_11target_archE910ELNS1_3gpuE8ELNS1_3repE0EEENS1_30default_config_static_selectorELNS0_4arch9wavefront6targetE0EEEvSP_.uses_flat_scratch, 0
	.set _ZN7rocprim17ROCPRIM_400000_NS6detail17trampoline_kernelINS0_14default_configENS1_21merge_config_selectorIiNS0_10empty_typeEEEZNS1_10merge_implIS3_N6thrust23THRUST_200600_302600_NS6detail15normal_iteratorINS9_10device_ptrIKiEEEESF_NSB_INSC_IiEEEEPS5_SI_SI_NS9_4lessIiEEEE10hipError_tPvRmT0_T1_T2_T3_T4_T5_mmT6_P12ihipStream_tbEUlT_E0_NS1_11comp_targetILNS1_3genE4ELNS1_11target_archE910ELNS1_3gpuE8ELNS1_3repE0EEENS1_30default_config_static_selectorELNS0_4arch9wavefront6targetE0EEEvSP_.has_dyn_sized_stack, 0
	.set _ZN7rocprim17ROCPRIM_400000_NS6detail17trampoline_kernelINS0_14default_configENS1_21merge_config_selectorIiNS0_10empty_typeEEEZNS1_10merge_implIS3_N6thrust23THRUST_200600_302600_NS6detail15normal_iteratorINS9_10device_ptrIKiEEEESF_NSB_INSC_IiEEEEPS5_SI_SI_NS9_4lessIiEEEE10hipError_tPvRmT0_T1_T2_T3_T4_T5_mmT6_P12ihipStream_tbEUlT_E0_NS1_11comp_targetILNS1_3genE4ELNS1_11target_archE910ELNS1_3gpuE8ELNS1_3repE0EEENS1_30default_config_static_selectorELNS0_4arch9wavefront6targetE0EEEvSP_.has_recursion, 0
	.set _ZN7rocprim17ROCPRIM_400000_NS6detail17trampoline_kernelINS0_14default_configENS1_21merge_config_selectorIiNS0_10empty_typeEEEZNS1_10merge_implIS3_N6thrust23THRUST_200600_302600_NS6detail15normal_iteratorINS9_10device_ptrIKiEEEESF_NSB_INSC_IiEEEEPS5_SI_SI_NS9_4lessIiEEEE10hipError_tPvRmT0_T1_T2_T3_T4_T5_mmT6_P12ihipStream_tbEUlT_E0_NS1_11comp_targetILNS1_3genE4ELNS1_11target_archE910ELNS1_3gpuE8ELNS1_3repE0EEENS1_30default_config_static_selectorELNS0_4arch9wavefront6targetE0EEEvSP_.has_indirect_call, 0
	.section	.AMDGPU.csdata,"",@progbits
; Kernel info:
; codeLenInByte = 0
; TotalNumSgprs: 0
; NumVgprs: 0
; ScratchSize: 0
; MemoryBound: 0
; FloatMode: 240
; IeeeMode: 1
; LDSByteSize: 0 bytes/workgroup (compile time only)
; SGPRBlocks: 0
; VGPRBlocks: 0
; NumSGPRsForWavesPerEU: 1
; NumVGPRsForWavesPerEU: 1
; NamedBarCnt: 0
; Occupancy: 16
; WaveLimiterHint : 0
; COMPUTE_PGM_RSRC2:SCRATCH_EN: 0
; COMPUTE_PGM_RSRC2:USER_SGPR: 2
; COMPUTE_PGM_RSRC2:TRAP_HANDLER: 0
; COMPUTE_PGM_RSRC2:TGID_X_EN: 1
; COMPUTE_PGM_RSRC2:TGID_Y_EN: 0
; COMPUTE_PGM_RSRC2:TGID_Z_EN: 0
; COMPUTE_PGM_RSRC2:TIDIG_COMP_CNT: 0
	.section	.text._ZN7rocprim17ROCPRIM_400000_NS6detail17trampoline_kernelINS0_14default_configENS1_21merge_config_selectorIiNS0_10empty_typeEEEZNS1_10merge_implIS3_N6thrust23THRUST_200600_302600_NS6detail15normal_iteratorINS9_10device_ptrIKiEEEESF_NSB_INSC_IiEEEEPS5_SI_SI_NS9_4lessIiEEEE10hipError_tPvRmT0_T1_T2_T3_T4_T5_mmT6_P12ihipStream_tbEUlT_E0_NS1_11comp_targetILNS1_3genE3ELNS1_11target_archE908ELNS1_3gpuE7ELNS1_3repE0EEENS1_30default_config_static_selectorELNS0_4arch9wavefront6targetE0EEEvSP_,"axG",@progbits,_ZN7rocprim17ROCPRIM_400000_NS6detail17trampoline_kernelINS0_14default_configENS1_21merge_config_selectorIiNS0_10empty_typeEEEZNS1_10merge_implIS3_N6thrust23THRUST_200600_302600_NS6detail15normal_iteratorINS9_10device_ptrIKiEEEESF_NSB_INSC_IiEEEEPS5_SI_SI_NS9_4lessIiEEEE10hipError_tPvRmT0_T1_T2_T3_T4_T5_mmT6_P12ihipStream_tbEUlT_E0_NS1_11comp_targetILNS1_3genE3ELNS1_11target_archE908ELNS1_3gpuE7ELNS1_3repE0EEENS1_30default_config_static_selectorELNS0_4arch9wavefront6targetE0EEEvSP_,comdat
	.protected	_ZN7rocprim17ROCPRIM_400000_NS6detail17trampoline_kernelINS0_14default_configENS1_21merge_config_selectorIiNS0_10empty_typeEEEZNS1_10merge_implIS3_N6thrust23THRUST_200600_302600_NS6detail15normal_iteratorINS9_10device_ptrIKiEEEESF_NSB_INSC_IiEEEEPS5_SI_SI_NS9_4lessIiEEEE10hipError_tPvRmT0_T1_T2_T3_T4_T5_mmT6_P12ihipStream_tbEUlT_E0_NS1_11comp_targetILNS1_3genE3ELNS1_11target_archE908ELNS1_3gpuE7ELNS1_3repE0EEENS1_30default_config_static_selectorELNS0_4arch9wavefront6targetE0EEEvSP_ ; -- Begin function _ZN7rocprim17ROCPRIM_400000_NS6detail17trampoline_kernelINS0_14default_configENS1_21merge_config_selectorIiNS0_10empty_typeEEEZNS1_10merge_implIS3_N6thrust23THRUST_200600_302600_NS6detail15normal_iteratorINS9_10device_ptrIKiEEEESF_NSB_INSC_IiEEEEPS5_SI_SI_NS9_4lessIiEEEE10hipError_tPvRmT0_T1_T2_T3_T4_T5_mmT6_P12ihipStream_tbEUlT_E0_NS1_11comp_targetILNS1_3genE3ELNS1_11target_archE908ELNS1_3gpuE7ELNS1_3repE0EEENS1_30default_config_static_selectorELNS0_4arch9wavefront6targetE0EEEvSP_
	.globl	_ZN7rocprim17ROCPRIM_400000_NS6detail17trampoline_kernelINS0_14default_configENS1_21merge_config_selectorIiNS0_10empty_typeEEEZNS1_10merge_implIS3_N6thrust23THRUST_200600_302600_NS6detail15normal_iteratorINS9_10device_ptrIKiEEEESF_NSB_INSC_IiEEEEPS5_SI_SI_NS9_4lessIiEEEE10hipError_tPvRmT0_T1_T2_T3_T4_T5_mmT6_P12ihipStream_tbEUlT_E0_NS1_11comp_targetILNS1_3genE3ELNS1_11target_archE908ELNS1_3gpuE7ELNS1_3repE0EEENS1_30default_config_static_selectorELNS0_4arch9wavefront6targetE0EEEvSP_
	.p2align	8
	.type	_ZN7rocprim17ROCPRIM_400000_NS6detail17trampoline_kernelINS0_14default_configENS1_21merge_config_selectorIiNS0_10empty_typeEEEZNS1_10merge_implIS3_N6thrust23THRUST_200600_302600_NS6detail15normal_iteratorINS9_10device_ptrIKiEEEESF_NSB_INSC_IiEEEEPS5_SI_SI_NS9_4lessIiEEEE10hipError_tPvRmT0_T1_T2_T3_T4_T5_mmT6_P12ihipStream_tbEUlT_E0_NS1_11comp_targetILNS1_3genE3ELNS1_11target_archE908ELNS1_3gpuE7ELNS1_3repE0EEENS1_30default_config_static_selectorELNS0_4arch9wavefront6targetE0EEEvSP_,@function
_ZN7rocprim17ROCPRIM_400000_NS6detail17trampoline_kernelINS0_14default_configENS1_21merge_config_selectorIiNS0_10empty_typeEEEZNS1_10merge_implIS3_N6thrust23THRUST_200600_302600_NS6detail15normal_iteratorINS9_10device_ptrIKiEEEESF_NSB_INSC_IiEEEEPS5_SI_SI_NS9_4lessIiEEEE10hipError_tPvRmT0_T1_T2_T3_T4_T5_mmT6_P12ihipStream_tbEUlT_E0_NS1_11comp_targetILNS1_3genE3ELNS1_11target_archE908ELNS1_3gpuE7ELNS1_3repE0EEENS1_30default_config_static_selectorELNS0_4arch9wavefront6targetE0EEEvSP_: ; @_ZN7rocprim17ROCPRIM_400000_NS6detail17trampoline_kernelINS0_14default_configENS1_21merge_config_selectorIiNS0_10empty_typeEEEZNS1_10merge_implIS3_N6thrust23THRUST_200600_302600_NS6detail15normal_iteratorINS9_10device_ptrIKiEEEESF_NSB_INSC_IiEEEEPS5_SI_SI_NS9_4lessIiEEEE10hipError_tPvRmT0_T1_T2_T3_T4_T5_mmT6_P12ihipStream_tbEUlT_E0_NS1_11comp_targetILNS1_3genE3ELNS1_11target_archE908ELNS1_3gpuE7ELNS1_3repE0EEENS1_30default_config_static_selectorELNS0_4arch9wavefront6targetE0EEEvSP_
; %bb.0:
	.section	.rodata,"a",@progbits
	.p2align	6, 0x0
	.amdhsa_kernel _ZN7rocprim17ROCPRIM_400000_NS6detail17trampoline_kernelINS0_14default_configENS1_21merge_config_selectorIiNS0_10empty_typeEEEZNS1_10merge_implIS3_N6thrust23THRUST_200600_302600_NS6detail15normal_iteratorINS9_10device_ptrIKiEEEESF_NSB_INSC_IiEEEEPS5_SI_SI_NS9_4lessIiEEEE10hipError_tPvRmT0_T1_T2_T3_T4_T5_mmT6_P12ihipStream_tbEUlT_E0_NS1_11comp_targetILNS1_3genE3ELNS1_11target_archE908ELNS1_3gpuE7ELNS1_3repE0EEENS1_30default_config_static_selectorELNS0_4arch9wavefront6targetE0EEEvSP_
		.amdhsa_group_segment_fixed_size 0
		.amdhsa_private_segment_fixed_size 0
		.amdhsa_kernarg_size 88
		.amdhsa_user_sgpr_count 2
		.amdhsa_user_sgpr_dispatch_ptr 0
		.amdhsa_user_sgpr_queue_ptr 0
		.amdhsa_user_sgpr_kernarg_segment_ptr 1
		.amdhsa_user_sgpr_dispatch_id 0
		.amdhsa_user_sgpr_kernarg_preload_length 0
		.amdhsa_user_sgpr_kernarg_preload_offset 0
		.amdhsa_user_sgpr_private_segment_size 0
		.amdhsa_wavefront_size32 1
		.amdhsa_uses_dynamic_stack 0
		.amdhsa_enable_private_segment 0
		.amdhsa_system_sgpr_workgroup_id_x 1
		.amdhsa_system_sgpr_workgroup_id_y 0
		.amdhsa_system_sgpr_workgroup_id_z 0
		.amdhsa_system_sgpr_workgroup_info 0
		.amdhsa_system_vgpr_workitem_id 0
		.amdhsa_next_free_vgpr 1
		.amdhsa_next_free_sgpr 1
		.amdhsa_named_barrier_count 0
		.amdhsa_reserve_vcc 0
		.amdhsa_float_round_mode_32 0
		.amdhsa_float_round_mode_16_64 0
		.amdhsa_float_denorm_mode_32 3
		.amdhsa_float_denorm_mode_16_64 3
		.amdhsa_fp16_overflow 0
		.amdhsa_memory_ordered 1
		.amdhsa_forward_progress 1
		.amdhsa_inst_pref_size 0
		.amdhsa_round_robin_scheduling 0
		.amdhsa_exception_fp_ieee_invalid_op 0
		.amdhsa_exception_fp_denorm_src 0
		.amdhsa_exception_fp_ieee_div_zero 0
		.amdhsa_exception_fp_ieee_overflow 0
		.amdhsa_exception_fp_ieee_underflow 0
		.amdhsa_exception_fp_ieee_inexact 0
		.amdhsa_exception_int_div_zero 0
	.end_amdhsa_kernel
	.section	.text._ZN7rocprim17ROCPRIM_400000_NS6detail17trampoline_kernelINS0_14default_configENS1_21merge_config_selectorIiNS0_10empty_typeEEEZNS1_10merge_implIS3_N6thrust23THRUST_200600_302600_NS6detail15normal_iteratorINS9_10device_ptrIKiEEEESF_NSB_INSC_IiEEEEPS5_SI_SI_NS9_4lessIiEEEE10hipError_tPvRmT0_T1_T2_T3_T4_T5_mmT6_P12ihipStream_tbEUlT_E0_NS1_11comp_targetILNS1_3genE3ELNS1_11target_archE908ELNS1_3gpuE7ELNS1_3repE0EEENS1_30default_config_static_selectorELNS0_4arch9wavefront6targetE0EEEvSP_,"axG",@progbits,_ZN7rocprim17ROCPRIM_400000_NS6detail17trampoline_kernelINS0_14default_configENS1_21merge_config_selectorIiNS0_10empty_typeEEEZNS1_10merge_implIS3_N6thrust23THRUST_200600_302600_NS6detail15normal_iteratorINS9_10device_ptrIKiEEEESF_NSB_INSC_IiEEEEPS5_SI_SI_NS9_4lessIiEEEE10hipError_tPvRmT0_T1_T2_T3_T4_T5_mmT6_P12ihipStream_tbEUlT_E0_NS1_11comp_targetILNS1_3genE3ELNS1_11target_archE908ELNS1_3gpuE7ELNS1_3repE0EEENS1_30default_config_static_selectorELNS0_4arch9wavefront6targetE0EEEvSP_,comdat
.Lfunc_end13:
	.size	_ZN7rocprim17ROCPRIM_400000_NS6detail17trampoline_kernelINS0_14default_configENS1_21merge_config_selectorIiNS0_10empty_typeEEEZNS1_10merge_implIS3_N6thrust23THRUST_200600_302600_NS6detail15normal_iteratorINS9_10device_ptrIKiEEEESF_NSB_INSC_IiEEEEPS5_SI_SI_NS9_4lessIiEEEE10hipError_tPvRmT0_T1_T2_T3_T4_T5_mmT6_P12ihipStream_tbEUlT_E0_NS1_11comp_targetILNS1_3genE3ELNS1_11target_archE908ELNS1_3gpuE7ELNS1_3repE0EEENS1_30default_config_static_selectorELNS0_4arch9wavefront6targetE0EEEvSP_, .Lfunc_end13-_ZN7rocprim17ROCPRIM_400000_NS6detail17trampoline_kernelINS0_14default_configENS1_21merge_config_selectorIiNS0_10empty_typeEEEZNS1_10merge_implIS3_N6thrust23THRUST_200600_302600_NS6detail15normal_iteratorINS9_10device_ptrIKiEEEESF_NSB_INSC_IiEEEEPS5_SI_SI_NS9_4lessIiEEEE10hipError_tPvRmT0_T1_T2_T3_T4_T5_mmT6_P12ihipStream_tbEUlT_E0_NS1_11comp_targetILNS1_3genE3ELNS1_11target_archE908ELNS1_3gpuE7ELNS1_3repE0EEENS1_30default_config_static_selectorELNS0_4arch9wavefront6targetE0EEEvSP_
                                        ; -- End function
	.set _ZN7rocprim17ROCPRIM_400000_NS6detail17trampoline_kernelINS0_14default_configENS1_21merge_config_selectorIiNS0_10empty_typeEEEZNS1_10merge_implIS3_N6thrust23THRUST_200600_302600_NS6detail15normal_iteratorINS9_10device_ptrIKiEEEESF_NSB_INSC_IiEEEEPS5_SI_SI_NS9_4lessIiEEEE10hipError_tPvRmT0_T1_T2_T3_T4_T5_mmT6_P12ihipStream_tbEUlT_E0_NS1_11comp_targetILNS1_3genE3ELNS1_11target_archE908ELNS1_3gpuE7ELNS1_3repE0EEENS1_30default_config_static_selectorELNS0_4arch9wavefront6targetE0EEEvSP_.num_vgpr, 0
	.set _ZN7rocprim17ROCPRIM_400000_NS6detail17trampoline_kernelINS0_14default_configENS1_21merge_config_selectorIiNS0_10empty_typeEEEZNS1_10merge_implIS3_N6thrust23THRUST_200600_302600_NS6detail15normal_iteratorINS9_10device_ptrIKiEEEESF_NSB_INSC_IiEEEEPS5_SI_SI_NS9_4lessIiEEEE10hipError_tPvRmT0_T1_T2_T3_T4_T5_mmT6_P12ihipStream_tbEUlT_E0_NS1_11comp_targetILNS1_3genE3ELNS1_11target_archE908ELNS1_3gpuE7ELNS1_3repE0EEENS1_30default_config_static_selectorELNS0_4arch9wavefront6targetE0EEEvSP_.num_agpr, 0
	.set _ZN7rocprim17ROCPRIM_400000_NS6detail17trampoline_kernelINS0_14default_configENS1_21merge_config_selectorIiNS0_10empty_typeEEEZNS1_10merge_implIS3_N6thrust23THRUST_200600_302600_NS6detail15normal_iteratorINS9_10device_ptrIKiEEEESF_NSB_INSC_IiEEEEPS5_SI_SI_NS9_4lessIiEEEE10hipError_tPvRmT0_T1_T2_T3_T4_T5_mmT6_P12ihipStream_tbEUlT_E0_NS1_11comp_targetILNS1_3genE3ELNS1_11target_archE908ELNS1_3gpuE7ELNS1_3repE0EEENS1_30default_config_static_selectorELNS0_4arch9wavefront6targetE0EEEvSP_.numbered_sgpr, 0
	.set _ZN7rocprim17ROCPRIM_400000_NS6detail17trampoline_kernelINS0_14default_configENS1_21merge_config_selectorIiNS0_10empty_typeEEEZNS1_10merge_implIS3_N6thrust23THRUST_200600_302600_NS6detail15normal_iteratorINS9_10device_ptrIKiEEEESF_NSB_INSC_IiEEEEPS5_SI_SI_NS9_4lessIiEEEE10hipError_tPvRmT0_T1_T2_T3_T4_T5_mmT6_P12ihipStream_tbEUlT_E0_NS1_11comp_targetILNS1_3genE3ELNS1_11target_archE908ELNS1_3gpuE7ELNS1_3repE0EEENS1_30default_config_static_selectorELNS0_4arch9wavefront6targetE0EEEvSP_.num_named_barrier, 0
	.set _ZN7rocprim17ROCPRIM_400000_NS6detail17trampoline_kernelINS0_14default_configENS1_21merge_config_selectorIiNS0_10empty_typeEEEZNS1_10merge_implIS3_N6thrust23THRUST_200600_302600_NS6detail15normal_iteratorINS9_10device_ptrIKiEEEESF_NSB_INSC_IiEEEEPS5_SI_SI_NS9_4lessIiEEEE10hipError_tPvRmT0_T1_T2_T3_T4_T5_mmT6_P12ihipStream_tbEUlT_E0_NS1_11comp_targetILNS1_3genE3ELNS1_11target_archE908ELNS1_3gpuE7ELNS1_3repE0EEENS1_30default_config_static_selectorELNS0_4arch9wavefront6targetE0EEEvSP_.private_seg_size, 0
	.set _ZN7rocprim17ROCPRIM_400000_NS6detail17trampoline_kernelINS0_14default_configENS1_21merge_config_selectorIiNS0_10empty_typeEEEZNS1_10merge_implIS3_N6thrust23THRUST_200600_302600_NS6detail15normal_iteratorINS9_10device_ptrIKiEEEESF_NSB_INSC_IiEEEEPS5_SI_SI_NS9_4lessIiEEEE10hipError_tPvRmT0_T1_T2_T3_T4_T5_mmT6_P12ihipStream_tbEUlT_E0_NS1_11comp_targetILNS1_3genE3ELNS1_11target_archE908ELNS1_3gpuE7ELNS1_3repE0EEENS1_30default_config_static_selectorELNS0_4arch9wavefront6targetE0EEEvSP_.uses_vcc, 0
	.set _ZN7rocprim17ROCPRIM_400000_NS6detail17trampoline_kernelINS0_14default_configENS1_21merge_config_selectorIiNS0_10empty_typeEEEZNS1_10merge_implIS3_N6thrust23THRUST_200600_302600_NS6detail15normal_iteratorINS9_10device_ptrIKiEEEESF_NSB_INSC_IiEEEEPS5_SI_SI_NS9_4lessIiEEEE10hipError_tPvRmT0_T1_T2_T3_T4_T5_mmT6_P12ihipStream_tbEUlT_E0_NS1_11comp_targetILNS1_3genE3ELNS1_11target_archE908ELNS1_3gpuE7ELNS1_3repE0EEENS1_30default_config_static_selectorELNS0_4arch9wavefront6targetE0EEEvSP_.uses_flat_scratch, 0
	.set _ZN7rocprim17ROCPRIM_400000_NS6detail17trampoline_kernelINS0_14default_configENS1_21merge_config_selectorIiNS0_10empty_typeEEEZNS1_10merge_implIS3_N6thrust23THRUST_200600_302600_NS6detail15normal_iteratorINS9_10device_ptrIKiEEEESF_NSB_INSC_IiEEEEPS5_SI_SI_NS9_4lessIiEEEE10hipError_tPvRmT0_T1_T2_T3_T4_T5_mmT6_P12ihipStream_tbEUlT_E0_NS1_11comp_targetILNS1_3genE3ELNS1_11target_archE908ELNS1_3gpuE7ELNS1_3repE0EEENS1_30default_config_static_selectorELNS0_4arch9wavefront6targetE0EEEvSP_.has_dyn_sized_stack, 0
	.set _ZN7rocprim17ROCPRIM_400000_NS6detail17trampoline_kernelINS0_14default_configENS1_21merge_config_selectorIiNS0_10empty_typeEEEZNS1_10merge_implIS3_N6thrust23THRUST_200600_302600_NS6detail15normal_iteratorINS9_10device_ptrIKiEEEESF_NSB_INSC_IiEEEEPS5_SI_SI_NS9_4lessIiEEEE10hipError_tPvRmT0_T1_T2_T3_T4_T5_mmT6_P12ihipStream_tbEUlT_E0_NS1_11comp_targetILNS1_3genE3ELNS1_11target_archE908ELNS1_3gpuE7ELNS1_3repE0EEENS1_30default_config_static_selectorELNS0_4arch9wavefront6targetE0EEEvSP_.has_recursion, 0
	.set _ZN7rocprim17ROCPRIM_400000_NS6detail17trampoline_kernelINS0_14default_configENS1_21merge_config_selectorIiNS0_10empty_typeEEEZNS1_10merge_implIS3_N6thrust23THRUST_200600_302600_NS6detail15normal_iteratorINS9_10device_ptrIKiEEEESF_NSB_INSC_IiEEEEPS5_SI_SI_NS9_4lessIiEEEE10hipError_tPvRmT0_T1_T2_T3_T4_T5_mmT6_P12ihipStream_tbEUlT_E0_NS1_11comp_targetILNS1_3genE3ELNS1_11target_archE908ELNS1_3gpuE7ELNS1_3repE0EEENS1_30default_config_static_selectorELNS0_4arch9wavefront6targetE0EEEvSP_.has_indirect_call, 0
	.section	.AMDGPU.csdata,"",@progbits
; Kernel info:
; codeLenInByte = 0
; TotalNumSgprs: 0
; NumVgprs: 0
; ScratchSize: 0
; MemoryBound: 0
; FloatMode: 240
; IeeeMode: 1
; LDSByteSize: 0 bytes/workgroup (compile time only)
; SGPRBlocks: 0
; VGPRBlocks: 0
; NumSGPRsForWavesPerEU: 1
; NumVGPRsForWavesPerEU: 1
; NamedBarCnt: 0
; Occupancy: 16
; WaveLimiterHint : 0
; COMPUTE_PGM_RSRC2:SCRATCH_EN: 0
; COMPUTE_PGM_RSRC2:USER_SGPR: 2
; COMPUTE_PGM_RSRC2:TRAP_HANDLER: 0
; COMPUTE_PGM_RSRC2:TGID_X_EN: 1
; COMPUTE_PGM_RSRC2:TGID_Y_EN: 0
; COMPUTE_PGM_RSRC2:TGID_Z_EN: 0
; COMPUTE_PGM_RSRC2:TIDIG_COMP_CNT: 0
	.section	.text._ZN7rocprim17ROCPRIM_400000_NS6detail17trampoline_kernelINS0_14default_configENS1_21merge_config_selectorIiNS0_10empty_typeEEEZNS1_10merge_implIS3_N6thrust23THRUST_200600_302600_NS6detail15normal_iteratorINS9_10device_ptrIKiEEEESF_NSB_INSC_IiEEEEPS5_SI_SI_NS9_4lessIiEEEE10hipError_tPvRmT0_T1_T2_T3_T4_T5_mmT6_P12ihipStream_tbEUlT_E0_NS1_11comp_targetILNS1_3genE2ELNS1_11target_archE906ELNS1_3gpuE6ELNS1_3repE0EEENS1_30default_config_static_selectorELNS0_4arch9wavefront6targetE0EEEvSP_,"axG",@progbits,_ZN7rocprim17ROCPRIM_400000_NS6detail17trampoline_kernelINS0_14default_configENS1_21merge_config_selectorIiNS0_10empty_typeEEEZNS1_10merge_implIS3_N6thrust23THRUST_200600_302600_NS6detail15normal_iteratorINS9_10device_ptrIKiEEEESF_NSB_INSC_IiEEEEPS5_SI_SI_NS9_4lessIiEEEE10hipError_tPvRmT0_T1_T2_T3_T4_T5_mmT6_P12ihipStream_tbEUlT_E0_NS1_11comp_targetILNS1_3genE2ELNS1_11target_archE906ELNS1_3gpuE6ELNS1_3repE0EEENS1_30default_config_static_selectorELNS0_4arch9wavefront6targetE0EEEvSP_,comdat
	.protected	_ZN7rocprim17ROCPRIM_400000_NS6detail17trampoline_kernelINS0_14default_configENS1_21merge_config_selectorIiNS0_10empty_typeEEEZNS1_10merge_implIS3_N6thrust23THRUST_200600_302600_NS6detail15normal_iteratorINS9_10device_ptrIKiEEEESF_NSB_INSC_IiEEEEPS5_SI_SI_NS9_4lessIiEEEE10hipError_tPvRmT0_T1_T2_T3_T4_T5_mmT6_P12ihipStream_tbEUlT_E0_NS1_11comp_targetILNS1_3genE2ELNS1_11target_archE906ELNS1_3gpuE6ELNS1_3repE0EEENS1_30default_config_static_selectorELNS0_4arch9wavefront6targetE0EEEvSP_ ; -- Begin function _ZN7rocprim17ROCPRIM_400000_NS6detail17trampoline_kernelINS0_14default_configENS1_21merge_config_selectorIiNS0_10empty_typeEEEZNS1_10merge_implIS3_N6thrust23THRUST_200600_302600_NS6detail15normal_iteratorINS9_10device_ptrIKiEEEESF_NSB_INSC_IiEEEEPS5_SI_SI_NS9_4lessIiEEEE10hipError_tPvRmT0_T1_T2_T3_T4_T5_mmT6_P12ihipStream_tbEUlT_E0_NS1_11comp_targetILNS1_3genE2ELNS1_11target_archE906ELNS1_3gpuE6ELNS1_3repE0EEENS1_30default_config_static_selectorELNS0_4arch9wavefront6targetE0EEEvSP_
	.globl	_ZN7rocprim17ROCPRIM_400000_NS6detail17trampoline_kernelINS0_14default_configENS1_21merge_config_selectorIiNS0_10empty_typeEEEZNS1_10merge_implIS3_N6thrust23THRUST_200600_302600_NS6detail15normal_iteratorINS9_10device_ptrIKiEEEESF_NSB_INSC_IiEEEEPS5_SI_SI_NS9_4lessIiEEEE10hipError_tPvRmT0_T1_T2_T3_T4_T5_mmT6_P12ihipStream_tbEUlT_E0_NS1_11comp_targetILNS1_3genE2ELNS1_11target_archE906ELNS1_3gpuE6ELNS1_3repE0EEENS1_30default_config_static_selectorELNS0_4arch9wavefront6targetE0EEEvSP_
	.p2align	8
	.type	_ZN7rocprim17ROCPRIM_400000_NS6detail17trampoline_kernelINS0_14default_configENS1_21merge_config_selectorIiNS0_10empty_typeEEEZNS1_10merge_implIS3_N6thrust23THRUST_200600_302600_NS6detail15normal_iteratorINS9_10device_ptrIKiEEEESF_NSB_INSC_IiEEEEPS5_SI_SI_NS9_4lessIiEEEE10hipError_tPvRmT0_T1_T2_T3_T4_T5_mmT6_P12ihipStream_tbEUlT_E0_NS1_11comp_targetILNS1_3genE2ELNS1_11target_archE906ELNS1_3gpuE6ELNS1_3repE0EEENS1_30default_config_static_selectorELNS0_4arch9wavefront6targetE0EEEvSP_,@function
_ZN7rocprim17ROCPRIM_400000_NS6detail17trampoline_kernelINS0_14default_configENS1_21merge_config_selectorIiNS0_10empty_typeEEEZNS1_10merge_implIS3_N6thrust23THRUST_200600_302600_NS6detail15normal_iteratorINS9_10device_ptrIKiEEEESF_NSB_INSC_IiEEEEPS5_SI_SI_NS9_4lessIiEEEE10hipError_tPvRmT0_T1_T2_T3_T4_T5_mmT6_P12ihipStream_tbEUlT_E0_NS1_11comp_targetILNS1_3genE2ELNS1_11target_archE906ELNS1_3gpuE6ELNS1_3repE0EEENS1_30default_config_static_selectorELNS0_4arch9wavefront6targetE0EEEvSP_: ; @_ZN7rocprim17ROCPRIM_400000_NS6detail17trampoline_kernelINS0_14default_configENS1_21merge_config_selectorIiNS0_10empty_typeEEEZNS1_10merge_implIS3_N6thrust23THRUST_200600_302600_NS6detail15normal_iteratorINS9_10device_ptrIKiEEEESF_NSB_INSC_IiEEEEPS5_SI_SI_NS9_4lessIiEEEE10hipError_tPvRmT0_T1_T2_T3_T4_T5_mmT6_P12ihipStream_tbEUlT_E0_NS1_11comp_targetILNS1_3genE2ELNS1_11target_archE906ELNS1_3gpuE6ELNS1_3repE0EEENS1_30default_config_static_selectorELNS0_4arch9wavefront6targetE0EEEvSP_
; %bb.0:
	.section	.rodata,"a",@progbits
	.p2align	6, 0x0
	.amdhsa_kernel _ZN7rocprim17ROCPRIM_400000_NS6detail17trampoline_kernelINS0_14default_configENS1_21merge_config_selectorIiNS0_10empty_typeEEEZNS1_10merge_implIS3_N6thrust23THRUST_200600_302600_NS6detail15normal_iteratorINS9_10device_ptrIKiEEEESF_NSB_INSC_IiEEEEPS5_SI_SI_NS9_4lessIiEEEE10hipError_tPvRmT0_T1_T2_T3_T4_T5_mmT6_P12ihipStream_tbEUlT_E0_NS1_11comp_targetILNS1_3genE2ELNS1_11target_archE906ELNS1_3gpuE6ELNS1_3repE0EEENS1_30default_config_static_selectorELNS0_4arch9wavefront6targetE0EEEvSP_
		.amdhsa_group_segment_fixed_size 0
		.amdhsa_private_segment_fixed_size 0
		.amdhsa_kernarg_size 88
		.amdhsa_user_sgpr_count 2
		.amdhsa_user_sgpr_dispatch_ptr 0
		.amdhsa_user_sgpr_queue_ptr 0
		.amdhsa_user_sgpr_kernarg_segment_ptr 1
		.amdhsa_user_sgpr_dispatch_id 0
		.amdhsa_user_sgpr_kernarg_preload_length 0
		.amdhsa_user_sgpr_kernarg_preload_offset 0
		.amdhsa_user_sgpr_private_segment_size 0
		.amdhsa_wavefront_size32 1
		.amdhsa_uses_dynamic_stack 0
		.amdhsa_enable_private_segment 0
		.amdhsa_system_sgpr_workgroup_id_x 1
		.amdhsa_system_sgpr_workgroup_id_y 0
		.amdhsa_system_sgpr_workgroup_id_z 0
		.amdhsa_system_sgpr_workgroup_info 0
		.amdhsa_system_vgpr_workitem_id 0
		.amdhsa_next_free_vgpr 1
		.amdhsa_next_free_sgpr 1
		.amdhsa_named_barrier_count 0
		.amdhsa_reserve_vcc 0
		.amdhsa_float_round_mode_32 0
		.amdhsa_float_round_mode_16_64 0
		.amdhsa_float_denorm_mode_32 3
		.amdhsa_float_denorm_mode_16_64 3
		.amdhsa_fp16_overflow 0
		.amdhsa_memory_ordered 1
		.amdhsa_forward_progress 1
		.amdhsa_inst_pref_size 0
		.amdhsa_round_robin_scheduling 0
		.amdhsa_exception_fp_ieee_invalid_op 0
		.amdhsa_exception_fp_denorm_src 0
		.amdhsa_exception_fp_ieee_div_zero 0
		.amdhsa_exception_fp_ieee_overflow 0
		.amdhsa_exception_fp_ieee_underflow 0
		.amdhsa_exception_fp_ieee_inexact 0
		.amdhsa_exception_int_div_zero 0
	.end_amdhsa_kernel
	.section	.text._ZN7rocprim17ROCPRIM_400000_NS6detail17trampoline_kernelINS0_14default_configENS1_21merge_config_selectorIiNS0_10empty_typeEEEZNS1_10merge_implIS3_N6thrust23THRUST_200600_302600_NS6detail15normal_iteratorINS9_10device_ptrIKiEEEESF_NSB_INSC_IiEEEEPS5_SI_SI_NS9_4lessIiEEEE10hipError_tPvRmT0_T1_T2_T3_T4_T5_mmT6_P12ihipStream_tbEUlT_E0_NS1_11comp_targetILNS1_3genE2ELNS1_11target_archE906ELNS1_3gpuE6ELNS1_3repE0EEENS1_30default_config_static_selectorELNS0_4arch9wavefront6targetE0EEEvSP_,"axG",@progbits,_ZN7rocprim17ROCPRIM_400000_NS6detail17trampoline_kernelINS0_14default_configENS1_21merge_config_selectorIiNS0_10empty_typeEEEZNS1_10merge_implIS3_N6thrust23THRUST_200600_302600_NS6detail15normal_iteratorINS9_10device_ptrIKiEEEESF_NSB_INSC_IiEEEEPS5_SI_SI_NS9_4lessIiEEEE10hipError_tPvRmT0_T1_T2_T3_T4_T5_mmT6_P12ihipStream_tbEUlT_E0_NS1_11comp_targetILNS1_3genE2ELNS1_11target_archE906ELNS1_3gpuE6ELNS1_3repE0EEENS1_30default_config_static_selectorELNS0_4arch9wavefront6targetE0EEEvSP_,comdat
.Lfunc_end14:
	.size	_ZN7rocprim17ROCPRIM_400000_NS6detail17trampoline_kernelINS0_14default_configENS1_21merge_config_selectorIiNS0_10empty_typeEEEZNS1_10merge_implIS3_N6thrust23THRUST_200600_302600_NS6detail15normal_iteratorINS9_10device_ptrIKiEEEESF_NSB_INSC_IiEEEEPS5_SI_SI_NS9_4lessIiEEEE10hipError_tPvRmT0_T1_T2_T3_T4_T5_mmT6_P12ihipStream_tbEUlT_E0_NS1_11comp_targetILNS1_3genE2ELNS1_11target_archE906ELNS1_3gpuE6ELNS1_3repE0EEENS1_30default_config_static_selectorELNS0_4arch9wavefront6targetE0EEEvSP_, .Lfunc_end14-_ZN7rocprim17ROCPRIM_400000_NS6detail17trampoline_kernelINS0_14default_configENS1_21merge_config_selectorIiNS0_10empty_typeEEEZNS1_10merge_implIS3_N6thrust23THRUST_200600_302600_NS6detail15normal_iteratorINS9_10device_ptrIKiEEEESF_NSB_INSC_IiEEEEPS5_SI_SI_NS9_4lessIiEEEE10hipError_tPvRmT0_T1_T2_T3_T4_T5_mmT6_P12ihipStream_tbEUlT_E0_NS1_11comp_targetILNS1_3genE2ELNS1_11target_archE906ELNS1_3gpuE6ELNS1_3repE0EEENS1_30default_config_static_selectorELNS0_4arch9wavefront6targetE0EEEvSP_
                                        ; -- End function
	.set _ZN7rocprim17ROCPRIM_400000_NS6detail17trampoline_kernelINS0_14default_configENS1_21merge_config_selectorIiNS0_10empty_typeEEEZNS1_10merge_implIS3_N6thrust23THRUST_200600_302600_NS6detail15normal_iteratorINS9_10device_ptrIKiEEEESF_NSB_INSC_IiEEEEPS5_SI_SI_NS9_4lessIiEEEE10hipError_tPvRmT0_T1_T2_T3_T4_T5_mmT6_P12ihipStream_tbEUlT_E0_NS1_11comp_targetILNS1_3genE2ELNS1_11target_archE906ELNS1_3gpuE6ELNS1_3repE0EEENS1_30default_config_static_selectorELNS0_4arch9wavefront6targetE0EEEvSP_.num_vgpr, 0
	.set _ZN7rocprim17ROCPRIM_400000_NS6detail17trampoline_kernelINS0_14default_configENS1_21merge_config_selectorIiNS0_10empty_typeEEEZNS1_10merge_implIS3_N6thrust23THRUST_200600_302600_NS6detail15normal_iteratorINS9_10device_ptrIKiEEEESF_NSB_INSC_IiEEEEPS5_SI_SI_NS9_4lessIiEEEE10hipError_tPvRmT0_T1_T2_T3_T4_T5_mmT6_P12ihipStream_tbEUlT_E0_NS1_11comp_targetILNS1_3genE2ELNS1_11target_archE906ELNS1_3gpuE6ELNS1_3repE0EEENS1_30default_config_static_selectorELNS0_4arch9wavefront6targetE0EEEvSP_.num_agpr, 0
	.set _ZN7rocprim17ROCPRIM_400000_NS6detail17trampoline_kernelINS0_14default_configENS1_21merge_config_selectorIiNS0_10empty_typeEEEZNS1_10merge_implIS3_N6thrust23THRUST_200600_302600_NS6detail15normal_iteratorINS9_10device_ptrIKiEEEESF_NSB_INSC_IiEEEEPS5_SI_SI_NS9_4lessIiEEEE10hipError_tPvRmT0_T1_T2_T3_T4_T5_mmT6_P12ihipStream_tbEUlT_E0_NS1_11comp_targetILNS1_3genE2ELNS1_11target_archE906ELNS1_3gpuE6ELNS1_3repE0EEENS1_30default_config_static_selectorELNS0_4arch9wavefront6targetE0EEEvSP_.numbered_sgpr, 0
	.set _ZN7rocprim17ROCPRIM_400000_NS6detail17trampoline_kernelINS0_14default_configENS1_21merge_config_selectorIiNS0_10empty_typeEEEZNS1_10merge_implIS3_N6thrust23THRUST_200600_302600_NS6detail15normal_iteratorINS9_10device_ptrIKiEEEESF_NSB_INSC_IiEEEEPS5_SI_SI_NS9_4lessIiEEEE10hipError_tPvRmT0_T1_T2_T3_T4_T5_mmT6_P12ihipStream_tbEUlT_E0_NS1_11comp_targetILNS1_3genE2ELNS1_11target_archE906ELNS1_3gpuE6ELNS1_3repE0EEENS1_30default_config_static_selectorELNS0_4arch9wavefront6targetE0EEEvSP_.num_named_barrier, 0
	.set _ZN7rocprim17ROCPRIM_400000_NS6detail17trampoline_kernelINS0_14default_configENS1_21merge_config_selectorIiNS0_10empty_typeEEEZNS1_10merge_implIS3_N6thrust23THRUST_200600_302600_NS6detail15normal_iteratorINS9_10device_ptrIKiEEEESF_NSB_INSC_IiEEEEPS5_SI_SI_NS9_4lessIiEEEE10hipError_tPvRmT0_T1_T2_T3_T4_T5_mmT6_P12ihipStream_tbEUlT_E0_NS1_11comp_targetILNS1_3genE2ELNS1_11target_archE906ELNS1_3gpuE6ELNS1_3repE0EEENS1_30default_config_static_selectorELNS0_4arch9wavefront6targetE0EEEvSP_.private_seg_size, 0
	.set _ZN7rocprim17ROCPRIM_400000_NS6detail17trampoline_kernelINS0_14default_configENS1_21merge_config_selectorIiNS0_10empty_typeEEEZNS1_10merge_implIS3_N6thrust23THRUST_200600_302600_NS6detail15normal_iteratorINS9_10device_ptrIKiEEEESF_NSB_INSC_IiEEEEPS5_SI_SI_NS9_4lessIiEEEE10hipError_tPvRmT0_T1_T2_T3_T4_T5_mmT6_P12ihipStream_tbEUlT_E0_NS1_11comp_targetILNS1_3genE2ELNS1_11target_archE906ELNS1_3gpuE6ELNS1_3repE0EEENS1_30default_config_static_selectorELNS0_4arch9wavefront6targetE0EEEvSP_.uses_vcc, 0
	.set _ZN7rocprim17ROCPRIM_400000_NS6detail17trampoline_kernelINS0_14default_configENS1_21merge_config_selectorIiNS0_10empty_typeEEEZNS1_10merge_implIS3_N6thrust23THRUST_200600_302600_NS6detail15normal_iteratorINS9_10device_ptrIKiEEEESF_NSB_INSC_IiEEEEPS5_SI_SI_NS9_4lessIiEEEE10hipError_tPvRmT0_T1_T2_T3_T4_T5_mmT6_P12ihipStream_tbEUlT_E0_NS1_11comp_targetILNS1_3genE2ELNS1_11target_archE906ELNS1_3gpuE6ELNS1_3repE0EEENS1_30default_config_static_selectorELNS0_4arch9wavefront6targetE0EEEvSP_.uses_flat_scratch, 0
	.set _ZN7rocprim17ROCPRIM_400000_NS6detail17trampoline_kernelINS0_14default_configENS1_21merge_config_selectorIiNS0_10empty_typeEEEZNS1_10merge_implIS3_N6thrust23THRUST_200600_302600_NS6detail15normal_iteratorINS9_10device_ptrIKiEEEESF_NSB_INSC_IiEEEEPS5_SI_SI_NS9_4lessIiEEEE10hipError_tPvRmT0_T1_T2_T3_T4_T5_mmT6_P12ihipStream_tbEUlT_E0_NS1_11comp_targetILNS1_3genE2ELNS1_11target_archE906ELNS1_3gpuE6ELNS1_3repE0EEENS1_30default_config_static_selectorELNS0_4arch9wavefront6targetE0EEEvSP_.has_dyn_sized_stack, 0
	.set _ZN7rocprim17ROCPRIM_400000_NS6detail17trampoline_kernelINS0_14default_configENS1_21merge_config_selectorIiNS0_10empty_typeEEEZNS1_10merge_implIS3_N6thrust23THRUST_200600_302600_NS6detail15normal_iteratorINS9_10device_ptrIKiEEEESF_NSB_INSC_IiEEEEPS5_SI_SI_NS9_4lessIiEEEE10hipError_tPvRmT0_T1_T2_T3_T4_T5_mmT6_P12ihipStream_tbEUlT_E0_NS1_11comp_targetILNS1_3genE2ELNS1_11target_archE906ELNS1_3gpuE6ELNS1_3repE0EEENS1_30default_config_static_selectorELNS0_4arch9wavefront6targetE0EEEvSP_.has_recursion, 0
	.set _ZN7rocprim17ROCPRIM_400000_NS6detail17trampoline_kernelINS0_14default_configENS1_21merge_config_selectorIiNS0_10empty_typeEEEZNS1_10merge_implIS3_N6thrust23THRUST_200600_302600_NS6detail15normal_iteratorINS9_10device_ptrIKiEEEESF_NSB_INSC_IiEEEEPS5_SI_SI_NS9_4lessIiEEEE10hipError_tPvRmT0_T1_T2_T3_T4_T5_mmT6_P12ihipStream_tbEUlT_E0_NS1_11comp_targetILNS1_3genE2ELNS1_11target_archE906ELNS1_3gpuE6ELNS1_3repE0EEENS1_30default_config_static_selectorELNS0_4arch9wavefront6targetE0EEEvSP_.has_indirect_call, 0
	.section	.AMDGPU.csdata,"",@progbits
; Kernel info:
; codeLenInByte = 0
; TotalNumSgprs: 0
; NumVgprs: 0
; ScratchSize: 0
; MemoryBound: 0
; FloatMode: 240
; IeeeMode: 1
; LDSByteSize: 0 bytes/workgroup (compile time only)
; SGPRBlocks: 0
; VGPRBlocks: 0
; NumSGPRsForWavesPerEU: 1
; NumVGPRsForWavesPerEU: 1
; NamedBarCnt: 0
; Occupancy: 16
; WaveLimiterHint : 0
; COMPUTE_PGM_RSRC2:SCRATCH_EN: 0
; COMPUTE_PGM_RSRC2:USER_SGPR: 2
; COMPUTE_PGM_RSRC2:TRAP_HANDLER: 0
; COMPUTE_PGM_RSRC2:TGID_X_EN: 1
; COMPUTE_PGM_RSRC2:TGID_Y_EN: 0
; COMPUTE_PGM_RSRC2:TGID_Z_EN: 0
; COMPUTE_PGM_RSRC2:TIDIG_COMP_CNT: 0
	.section	.text._ZN7rocprim17ROCPRIM_400000_NS6detail17trampoline_kernelINS0_14default_configENS1_21merge_config_selectorIiNS0_10empty_typeEEEZNS1_10merge_implIS3_N6thrust23THRUST_200600_302600_NS6detail15normal_iteratorINS9_10device_ptrIKiEEEESF_NSB_INSC_IiEEEEPS5_SI_SI_NS9_4lessIiEEEE10hipError_tPvRmT0_T1_T2_T3_T4_T5_mmT6_P12ihipStream_tbEUlT_E0_NS1_11comp_targetILNS1_3genE10ELNS1_11target_archE1201ELNS1_3gpuE5ELNS1_3repE0EEENS1_30default_config_static_selectorELNS0_4arch9wavefront6targetE0EEEvSP_,"axG",@progbits,_ZN7rocprim17ROCPRIM_400000_NS6detail17trampoline_kernelINS0_14default_configENS1_21merge_config_selectorIiNS0_10empty_typeEEEZNS1_10merge_implIS3_N6thrust23THRUST_200600_302600_NS6detail15normal_iteratorINS9_10device_ptrIKiEEEESF_NSB_INSC_IiEEEEPS5_SI_SI_NS9_4lessIiEEEE10hipError_tPvRmT0_T1_T2_T3_T4_T5_mmT6_P12ihipStream_tbEUlT_E0_NS1_11comp_targetILNS1_3genE10ELNS1_11target_archE1201ELNS1_3gpuE5ELNS1_3repE0EEENS1_30default_config_static_selectorELNS0_4arch9wavefront6targetE0EEEvSP_,comdat
	.protected	_ZN7rocprim17ROCPRIM_400000_NS6detail17trampoline_kernelINS0_14default_configENS1_21merge_config_selectorIiNS0_10empty_typeEEEZNS1_10merge_implIS3_N6thrust23THRUST_200600_302600_NS6detail15normal_iteratorINS9_10device_ptrIKiEEEESF_NSB_INSC_IiEEEEPS5_SI_SI_NS9_4lessIiEEEE10hipError_tPvRmT0_T1_T2_T3_T4_T5_mmT6_P12ihipStream_tbEUlT_E0_NS1_11comp_targetILNS1_3genE10ELNS1_11target_archE1201ELNS1_3gpuE5ELNS1_3repE0EEENS1_30default_config_static_selectorELNS0_4arch9wavefront6targetE0EEEvSP_ ; -- Begin function _ZN7rocprim17ROCPRIM_400000_NS6detail17trampoline_kernelINS0_14default_configENS1_21merge_config_selectorIiNS0_10empty_typeEEEZNS1_10merge_implIS3_N6thrust23THRUST_200600_302600_NS6detail15normal_iteratorINS9_10device_ptrIKiEEEESF_NSB_INSC_IiEEEEPS5_SI_SI_NS9_4lessIiEEEE10hipError_tPvRmT0_T1_T2_T3_T4_T5_mmT6_P12ihipStream_tbEUlT_E0_NS1_11comp_targetILNS1_3genE10ELNS1_11target_archE1201ELNS1_3gpuE5ELNS1_3repE0EEENS1_30default_config_static_selectorELNS0_4arch9wavefront6targetE0EEEvSP_
	.globl	_ZN7rocprim17ROCPRIM_400000_NS6detail17trampoline_kernelINS0_14default_configENS1_21merge_config_selectorIiNS0_10empty_typeEEEZNS1_10merge_implIS3_N6thrust23THRUST_200600_302600_NS6detail15normal_iteratorINS9_10device_ptrIKiEEEESF_NSB_INSC_IiEEEEPS5_SI_SI_NS9_4lessIiEEEE10hipError_tPvRmT0_T1_T2_T3_T4_T5_mmT6_P12ihipStream_tbEUlT_E0_NS1_11comp_targetILNS1_3genE10ELNS1_11target_archE1201ELNS1_3gpuE5ELNS1_3repE0EEENS1_30default_config_static_selectorELNS0_4arch9wavefront6targetE0EEEvSP_
	.p2align	8
	.type	_ZN7rocprim17ROCPRIM_400000_NS6detail17trampoline_kernelINS0_14default_configENS1_21merge_config_selectorIiNS0_10empty_typeEEEZNS1_10merge_implIS3_N6thrust23THRUST_200600_302600_NS6detail15normal_iteratorINS9_10device_ptrIKiEEEESF_NSB_INSC_IiEEEEPS5_SI_SI_NS9_4lessIiEEEE10hipError_tPvRmT0_T1_T2_T3_T4_T5_mmT6_P12ihipStream_tbEUlT_E0_NS1_11comp_targetILNS1_3genE10ELNS1_11target_archE1201ELNS1_3gpuE5ELNS1_3repE0EEENS1_30default_config_static_selectorELNS0_4arch9wavefront6targetE0EEEvSP_,@function
_ZN7rocprim17ROCPRIM_400000_NS6detail17trampoline_kernelINS0_14default_configENS1_21merge_config_selectorIiNS0_10empty_typeEEEZNS1_10merge_implIS3_N6thrust23THRUST_200600_302600_NS6detail15normal_iteratorINS9_10device_ptrIKiEEEESF_NSB_INSC_IiEEEEPS5_SI_SI_NS9_4lessIiEEEE10hipError_tPvRmT0_T1_T2_T3_T4_T5_mmT6_P12ihipStream_tbEUlT_E0_NS1_11comp_targetILNS1_3genE10ELNS1_11target_archE1201ELNS1_3gpuE5ELNS1_3repE0EEENS1_30default_config_static_selectorELNS0_4arch9wavefront6targetE0EEEvSP_: ; @_ZN7rocprim17ROCPRIM_400000_NS6detail17trampoline_kernelINS0_14default_configENS1_21merge_config_selectorIiNS0_10empty_typeEEEZNS1_10merge_implIS3_N6thrust23THRUST_200600_302600_NS6detail15normal_iteratorINS9_10device_ptrIKiEEEESF_NSB_INSC_IiEEEEPS5_SI_SI_NS9_4lessIiEEEE10hipError_tPvRmT0_T1_T2_T3_T4_T5_mmT6_P12ihipStream_tbEUlT_E0_NS1_11comp_targetILNS1_3genE10ELNS1_11target_archE1201ELNS1_3gpuE5ELNS1_3repE0EEENS1_30default_config_static_selectorELNS0_4arch9wavefront6targetE0EEEvSP_
; %bb.0:
	.section	.rodata,"a",@progbits
	.p2align	6, 0x0
	.amdhsa_kernel _ZN7rocprim17ROCPRIM_400000_NS6detail17trampoline_kernelINS0_14default_configENS1_21merge_config_selectorIiNS0_10empty_typeEEEZNS1_10merge_implIS3_N6thrust23THRUST_200600_302600_NS6detail15normal_iteratorINS9_10device_ptrIKiEEEESF_NSB_INSC_IiEEEEPS5_SI_SI_NS9_4lessIiEEEE10hipError_tPvRmT0_T1_T2_T3_T4_T5_mmT6_P12ihipStream_tbEUlT_E0_NS1_11comp_targetILNS1_3genE10ELNS1_11target_archE1201ELNS1_3gpuE5ELNS1_3repE0EEENS1_30default_config_static_selectorELNS0_4arch9wavefront6targetE0EEEvSP_
		.amdhsa_group_segment_fixed_size 0
		.amdhsa_private_segment_fixed_size 0
		.amdhsa_kernarg_size 88
		.amdhsa_user_sgpr_count 2
		.amdhsa_user_sgpr_dispatch_ptr 0
		.amdhsa_user_sgpr_queue_ptr 0
		.amdhsa_user_sgpr_kernarg_segment_ptr 1
		.amdhsa_user_sgpr_dispatch_id 0
		.amdhsa_user_sgpr_kernarg_preload_length 0
		.amdhsa_user_sgpr_kernarg_preload_offset 0
		.amdhsa_user_sgpr_private_segment_size 0
		.amdhsa_wavefront_size32 1
		.amdhsa_uses_dynamic_stack 0
		.amdhsa_enable_private_segment 0
		.amdhsa_system_sgpr_workgroup_id_x 1
		.amdhsa_system_sgpr_workgroup_id_y 0
		.amdhsa_system_sgpr_workgroup_id_z 0
		.amdhsa_system_sgpr_workgroup_info 0
		.amdhsa_system_vgpr_workitem_id 0
		.amdhsa_next_free_vgpr 1
		.amdhsa_next_free_sgpr 1
		.amdhsa_named_barrier_count 0
		.amdhsa_reserve_vcc 0
		.amdhsa_float_round_mode_32 0
		.amdhsa_float_round_mode_16_64 0
		.amdhsa_float_denorm_mode_32 3
		.amdhsa_float_denorm_mode_16_64 3
		.amdhsa_fp16_overflow 0
		.amdhsa_memory_ordered 1
		.amdhsa_forward_progress 1
		.amdhsa_inst_pref_size 0
		.amdhsa_round_robin_scheduling 0
		.amdhsa_exception_fp_ieee_invalid_op 0
		.amdhsa_exception_fp_denorm_src 0
		.amdhsa_exception_fp_ieee_div_zero 0
		.amdhsa_exception_fp_ieee_overflow 0
		.amdhsa_exception_fp_ieee_underflow 0
		.amdhsa_exception_fp_ieee_inexact 0
		.amdhsa_exception_int_div_zero 0
	.end_amdhsa_kernel
	.section	.text._ZN7rocprim17ROCPRIM_400000_NS6detail17trampoline_kernelINS0_14default_configENS1_21merge_config_selectorIiNS0_10empty_typeEEEZNS1_10merge_implIS3_N6thrust23THRUST_200600_302600_NS6detail15normal_iteratorINS9_10device_ptrIKiEEEESF_NSB_INSC_IiEEEEPS5_SI_SI_NS9_4lessIiEEEE10hipError_tPvRmT0_T1_T2_T3_T4_T5_mmT6_P12ihipStream_tbEUlT_E0_NS1_11comp_targetILNS1_3genE10ELNS1_11target_archE1201ELNS1_3gpuE5ELNS1_3repE0EEENS1_30default_config_static_selectorELNS0_4arch9wavefront6targetE0EEEvSP_,"axG",@progbits,_ZN7rocprim17ROCPRIM_400000_NS6detail17trampoline_kernelINS0_14default_configENS1_21merge_config_selectorIiNS0_10empty_typeEEEZNS1_10merge_implIS3_N6thrust23THRUST_200600_302600_NS6detail15normal_iteratorINS9_10device_ptrIKiEEEESF_NSB_INSC_IiEEEEPS5_SI_SI_NS9_4lessIiEEEE10hipError_tPvRmT0_T1_T2_T3_T4_T5_mmT6_P12ihipStream_tbEUlT_E0_NS1_11comp_targetILNS1_3genE10ELNS1_11target_archE1201ELNS1_3gpuE5ELNS1_3repE0EEENS1_30default_config_static_selectorELNS0_4arch9wavefront6targetE0EEEvSP_,comdat
.Lfunc_end15:
	.size	_ZN7rocprim17ROCPRIM_400000_NS6detail17trampoline_kernelINS0_14default_configENS1_21merge_config_selectorIiNS0_10empty_typeEEEZNS1_10merge_implIS3_N6thrust23THRUST_200600_302600_NS6detail15normal_iteratorINS9_10device_ptrIKiEEEESF_NSB_INSC_IiEEEEPS5_SI_SI_NS9_4lessIiEEEE10hipError_tPvRmT0_T1_T2_T3_T4_T5_mmT6_P12ihipStream_tbEUlT_E0_NS1_11comp_targetILNS1_3genE10ELNS1_11target_archE1201ELNS1_3gpuE5ELNS1_3repE0EEENS1_30default_config_static_selectorELNS0_4arch9wavefront6targetE0EEEvSP_, .Lfunc_end15-_ZN7rocprim17ROCPRIM_400000_NS6detail17trampoline_kernelINS0_14default_configENS1_21merge_config_selectorIiNS0_10empty_typeEEEZNS1_10merge_implIS3_N6thrust23THRUST_200600_302600_NS6detail15normal_iteratorINS9_10device_ptrIKiEEEESF_NSB_INSC_IiEEEEPS5_SI_SI_NS9_4lessIiEEEE10hipError_tPvRmT0_T1_T2_T3_T4_T5_mmT6_P12ihipStream_tbEUlT_E0_NS1_11comp_targetILNS1_3genE10ELNS1_11target_archE1201ELNS1_3gpuE5ELNS1_3repE0EEENS1_30default_config_static_selectorELNS0_4arch9wavefront6targetE0EEEvSP_
                                        ; -- End function
	.set _ZN7rocprim17ROCPRIM_400000_NS6detail17trampoline_kernelINS0_14default_configENS1_21merge_config_selectorIiNS0_10empty_typeEEEZNS1_10merge_implIS3_N6thrust23THRUST_200600_302600_NS6detail15normal_iteratorINS9_10device_ptrIKiEEEESF_NSB_INSC_IiEEEEPS5_SI_SI_NS9_4lessIiEEEE10hipError_tPvRmT0_T1_T2_T3_T4_T5_mmT6_P12ihipStream_tbEUlT_E0_NS1_11comp_targetILNS1_3genE10ELNS1_11target_archE1201ELNS1_3gpuE5ELNS1_3repE0EEENS1_30default_config_static_selectorELNS0_4arch9wavefront6targetE0EEEvSP_.num_vgpr, 0
	.set _ZN7rocprim17ROCPRIM_400000_NS6detail17trampoline_kernelINS0_14default_configENS1_21merge_config_selectorIiNS0_10empty_typeEEEZNS1_10merge_implIS3_N6thrust23THRUST_200600_302600_NS6detail15normal_iteratorINS9_10device_ptrIKiEEEESF_NSB_INSC_IiEEEEPS5_SI_SI_NS9_4lessIiEEEE10hipError_tPvRmT0_T1_T2_T3_T4_T5_mmT6_P12ihipStream_tbEUlT_E0_NS1_11comp_targetILNS1_3genE10ELNS1_11target_archE1201ELNS1_3gpuE5ELNS1_3repE0EEENS1_30default_config_static_selectorELNS0_4arch9wavefront6targetE0EEEvSP_.num_agpr, 0
	.set _ZN7rocprim17ROCPRIM_400000_NS6detail17trampoline_kernelINS0_14default_configENS1_21merge_config_selectorIiNS0_10empty_typeEEEZNS1_10merge_implIS3_N6thrust23THRUST_200600_302600_NS6detail15normal_iteratorINS9_10device_ptrIKiEEEESF_NSB_INSC_IiEEEEPS5_SI_SI_NS9_4lessIiEEEE10hipError_tPvRmT0_T1_T2_T3_T4_T5_mmT6_P12ihipStream_tbEUlT_E0_NS1_11comp_targetILNS1_3genE10ELNS1_11target_archE1201ELNS1_3gpuE5ELNS1_3repE0EEENS1_30default_config_static_selectorELNS0_4arch9wavefront6targetE0EEEvSP_.numbered_sgpr, 0
	.set _ZN7rocprim17ROCPRIM_400000_NS6detail17trampoline_kernelINS0_14default_configENS1_21merge_config_selectorIiNS0_10empty_typeEEEZNS1_10merge_implIS3_N6thrust23THRUST_200600_302600_NS6detail15normal_iteratorINS9_10device_ptrIKiEEEESF_NSB_INSC_IiEEEEPS5_SI_SI_NS9_4lessIiEEEE10hipError_tPvRmT0_T1_T2_T3_T4_T5_mmT6_P12ihipStream_tbEUlT_E0_NS1_11comp_targetILNS1_3genE10ELNS1_11target_archE1201ELNS1_3gpuE5ELNS1_3repE0EEENS1_30default_config_static_selectorELNS0_4arch9wavefront6targetE0EEEvSP_.num_named_barrier, 0
	.set _ZN7rocprim17ROCPRIM_400000_NS6detail17trampoline_kernelINS0_14default_configENS1_21merge_config_selectorIiNS0_10empty_typeEEEZNS1_10merge_implIS3_N6thrust23THRUST_200600_302600_NS6detail15normal_iteratorINS9_10device_ptrIKiEEEESF_NSB_INSC_IiEEEEPS5_SI_SI_NS9_4lessIiEEEE10hipError_tPvRmT0_T1_T2_T3_T4_T5_mmT6_P12ihipStream_tbEUlT_E0_NS1_11comp_targetILNS1_3genE10ELNS1_11target_archE1201ELNS1_3gpuE5ELNS1_3repE0EEENS1_30default_config_static_selectorELNS0_4arch9wavefront6targetE0EEEvSP_.private_seg_size, 0
	.set _ZN7rocprim17ROCPRIM_400000_NS6detail17trampoline_kernelINS0_14default_configENS1_21merge_config_selectorIiNS0_10empty_typeEEEZNS1_10merge_implIS3_N6thrust23THRUST_200600_302600_NS6detail15normal_iteratorINS9_10device_ptrIKiEEEESF_NSB_INSC_IiEEEEPS5_SI_SI_NS9_4lessIiEEEE10hipError_tPvRmT0_T1_T2_T3_T4_T5_mmT6_P12ihipStream_tbEUlT_E0_NS1_11comp_targetILNS1_3genE10ELNS1_11target_archE1201ELNS1_3gpuE5ELNS1_3repE0EEENS1_30default_config_static_selectorELNS0_4arch9wavefront6targetE0EEEvSP_.uses_vcc, 0
	.set _ZN7rocprim17ROCPRIM_400000_NS6detail17trampoline_kernelINS0_14default_configENS1_21merge_config_selectorIiNS0_10empty_typeEEEZNS1_10merge_implIS3_N6thrust23THRUST_200600_302600_NS6detail15normal_iteratorINS9_10device_ptrIKiEEEESF_NSB_INSC_IiEEEEPS5_SI_SI_NS9_4lessIiEEEE10hipError_tPvRmT0_T1_T2_T3_T4_T5_mmT6_P12ihipStream_tbEUlT_E0_NS1_11comp_targetILNS1_3genE10ELNS1_11target_archE1201ELNS1_3gpuE5ELNS1_3repE0EEENS1_30default_config_static_selectorELNS0_4arch9wavefront6targetE0EEEvSP_.uses_flat_scratch, 0
	.set _ZN7rocprim17ROCPRIM_400000_NS6detail17trampoline_kernelINS0_14default_configENS1_21merge_config_selectorIiNS0_10empty_typeEEEZNS1_10merge_implIS3_N6thrust23THRUST_200600_302600_NS6detail15normal_iteratorINS9_10device_ptrIKiEEEESF_NSB_INSC_IiEEEEPS5_SI_SI_NS9_4lessIiEEEE10hipError_tPvRmT0_T1_T2_T3_T4_T5_mmT6_P12ihipStream_tbEUlT_E0_NS1_11comp_targetILNS1_3genE10ELNS1_11target_archE1201ELNS1_3gpuE5ELNS1_3repE0EEENS1_30default_config_static_selectorELNS0_4arch9wavefront6targetE0EEEvSP_.has_dyn_sized_stack, 0
	.set _ZN7rocprim17ROCPRIM_400000_NS6detail17trampoline_kernelINS0_14default_configENS1_21merge_config_selectorIiNS0_10empty_typeEEEZNS1_10merge_implIS3_N6thrust23THRUST_200600_302600_NS6detail15normal_iteratorINS9_10device_ptrIKiEEEESF_NSB_INSC_IiEEEEPS5_SI_SI_NS9_4lessIiEEEE10hipError_tPvRmT0_T1_T2_T3_T4_T5_mmT6_P12ihipStream_tbEUlT_E0_NS1_11comp_targetILNS1_3genE10ELNS1_11target_archE1201ELNS1_3gpuE5ELNS1_3repE0EEENS1_30default_config_static_selectorELNS0_4arch9wavefront6targetE0EEEvSP_.has_recursion, 0
	.set _ZN7rocprim17ROCPRIM_400000_NS6detail17trampoline_kernelINS0_14default_configENS1_21merge_config_selectorIiNS0_10empty_typeEEEZNS1_10merge_implIS3_N6thrust23THRUST_200600_302600_NS6detail15normal_iteratorINS9_10device_ptrIKiEEEESF_NSB_INSC_IiEEEEPS5_SI_SI_NS9_4lessIiEEEE10hipError_tPvRmT0_T1_T2_T3_T4_T5_mmT6_P12ihipStream_tbEUlT_E0_NS1_11comp_targetILNS1_3genE10ELNS1_11target_archE1201ELNS1_3gpuE5ELNS1_3repE0EEENS1_30default_config_static_selectorELNS0_4arch9wavefront6targetE0EEEvSP_.has_indirect_call, 0
	.section	.AMDGPU.csdata,"",@progbits
; Kernel info:
; codeLenInByte = 0
; TotalNumSgprs: 0
; NumVgprs: 0
; ScratchSize: 0
; MemoryBound: 0
; FloatMode: 240
; IeeeMode: 1
; LDSByteSize: 0 bytes/workgroup (compile time only)
; SGPRBlocks: 0
; VGPRBlocks: 0
; NumSGPRsForWavesPerEU: 1
; NumVGPRsForWavesPerEU: 1
; NamedBarCnt: 0
; Occupancy: 16
; WaveLimiterHint : 0
; COMPUTE_PGM_RSRC2:SCRATCH_EN: 0
; COMPUTE_PGM_RSRC2:USER_SGPR: 2
; COMPUTE_PGM_RSRC2:TRAP_HANDLER: 0
; COMPUTE_PGM_RSRC2:TGID_X_EN: 1
; COMPUTE_PGM_RSRC2:TGID_Y_EN: 0
; COMPUTE_PGM_RSRC2:TGID_Z_EN: 0
; COMPUTE_PGM_RSRC2:TIDIG_COMP_CNT: 0
	.section	.text._ZN7rocprim17ROCPRIM_400000_NS6detail17trampoline_kernelINS0_14default_configENS1_21merge_config_selectorIiNS0_10empty_typeEEEZNS1_10merge_implIS3_N6thrust23THRUST_200600_302600_NS6detail15normal_iteratorINS9_10device_ptrIKiEEEESF_NSB_INSC_IiEEEEPS5_SI_SI_NS9_4lessIiEEEE10hipError_tPvRmT0_T1_T2_T3_T4_T5_mmT6_P12ihipStream_tbEUlT_E0_NS1_11comp_targetILNS1_3genE10ELNS1_11target_archE1200ELNS1_3gpuE4ELNS1_3repE0EEENS1_30default_config_static_selectorELNS0_4arch9wavefront6targetE0EEEvSP_,"axG",@progbits,_ZN7rocprim17ROCPRIM_400000_NS6detail17trampoline_kernelINS0_14default_configENS1_21merge_config_selectorIiNS0_10empty_typeEEEZNS1_10merge_implIS3_N6thrust23THRUST_200600_302600_NS6detail15normal_iteratorINS9_10device_ptrIKiEEEESF_NSB_INSC_IiEEEEPS5_SI_SI_NS9_4lessIiEEEE10hipError_tPvRmT0_T1_T2_T3_T4_T5_mmT6_P12ihipStream_tbEUlT_E0_NS1_11comp_targetILNS1_3genE10ELNS1_11target_archE1200ELNS1_3gpuE4ELNS1_3repE0EEENS1_30default_config_static_selectorELNS0_4arch9wavefront6targetE0EEEvSP_,comdat
	.protected	_ZN7rocprim17ROCPRIM_400000_NS6detail17trampoline_kernelINS0_14default_configENS1_21merge_config_selectorIiNS0_10empty_typeEEEZNS1_10merge_implIS3_N6thrust23THRUST_200600_302600_NS6detail15normal_iteratorINS9_10device_ptrIKiEEEESF_NSB_INSC_IiEEEEPS5_SI_SI_NS9_4lessIiEEEE10hipError_tPvRmT0_T1_T2_T3_T4_T5_mmT6_P12ihipStream_tbEUlT_E0_NS1_11comp_targetILNS1_3genE10ELNS1_11target_archE1200ELNS1_3gpuE4ELNS1_3repE0EEENS1_30default_config_static_selectorELNS0_4arch9wavefront6targetE0EEEvSP_ ; -- Begin function _ZN7rocprim17ROCPRIM_400000_NS6detail17trampoline_kernelINS0_14default_configENS1_21merge_config_selectorIiNS0_10empty_typeEEEZNS1_10merge_implIS3_N6thrust23THRUST_200600_302600_NS6detail15normal_iteratorINS9_10device_ptrIKiEEEESF_NSB_INSC_IiEEEEPS5_SI_SI_NS9_4lessIiEEEE10hipError_tPvRmT0_T1_T2_T3_T4_T5_mmT6_P12ihipStream_tbEUlT_E0_NS1_11comp_targetILNS1_3genE10ELNS1_11target_archE1200ELNS1_3gpuE4ELNS1_3repE0EEENS1_30default_config_static_selectorELNS0_4arch9wavefront6targetE0EEEvSP_
	.globl	_ZN7rocprim17ROCPRIM_400000_NS6detail17trampoline_kernelINS0_14default_configENS1_21merge_config_selectorIiNS0_10empty_typeEEEZNS1_10merge_implIS3_N6thrust23THRUST_200600_302600_NS6detail15normal_iteratorINS9_10device_ptrIKiEEEESF_NSB_INSC_IiEEEEPS5_SI_SI_NS9_4lessIiEEEE10hipError_tPvRmT0_T1_T2_T3_T4_T5_mmT6_P12ihipStream_tbEUlT_E0_NS1_11comp_targetILNS1_3genE10ELNS1_11target_archE1200ELNS1_3gpuE4ELNS1_3repE0EEENS1_30default_config_static_selectorELNS0_4arch9wavefront6targetE0EEEvSP_
	.p2align	8
	.type	_ZN7rocprim17ROCPRIM_400000_NS6detail17trampoline_kernelINS0_14default_configENS1_21merge_config_selectorIiNS0_10empty_typeEEEZNS1_10merge_implIS3_N6thrust23THRUST_200600_302600_NS6detail15normal_iteratorINS9_10device_ptrIKiEEEESF_NSB_INSC_IiEEEEPS5_SI_SI_NS9_4lessIiEEEE10hipError_tPvRmT0_T1_T2_T3_T4_T5_mmT6_P12ihipStream_tbEUlT_E0_NS1_11comp_targetILNS1_3genE10ELNS1_11target_archE1200ELNS1_3gpuE4ELNS1_3repE0EEENS1_30default_config_static_selectorELNS0_4arch9wavefront6targetE0EEEvSP_,@function
_ZN7rocprim17ROCPRIM_400000_NS6detail17trampoline_kernelINS0_14default_configENS1_21merge_config_selectorIiNS0_10empty_typeEEEZNS1_10merge_implIS3_N6thrust23THRUST_200600_302600_NS6detail15normal_iteratorINS9_10device_ptrIKiEEEESF_NSB_INSC_IiEEEEPS5_SI_SI_NS9_4lessIiEEEE10hipError_tPvRmT0_T1_T2_T3_T4_T5_mmT6_P12ihipStream_tbEUlT_E0_NS1_11comp_targetILNS1_3genE10ELNS1_11target_archE1200ELNS1_3gpuE4ELNS1_3repE0EEENS1_30default_config_static_selectorELNS0_4arch9wavefront6targetE0EEEvSP_: ; @_ZN7rocprim17ROCPRIM_400000_NS6detail17trampoline_kernelINS0_14default_configENS1_21merge_config_selectorIiNS0_10empty_typeEEEZNS1_10merge_implIS3_N6thrust23THRUST_200600_302600_NS6detail15normal_iteratorINS9_10device_ptrIKiEEEESF_NSB_INSC_IiEEEEPS5_SI_SI_NS9_4lessIiEEEE10hipError_tPvRmT0_T1_T2_T3_T4_T5_mmT6_P12ihipStream_tbEUlT_E0_NS1_11comp_targetILNS1_3genE10ELNS1_11target_archE1200ELNS1_3gpuE4ELNS1_3repE0EEENS1_30default_config_static_selectorELNS0_4arch9wavefront6targetE0EEEvSP_
; %bb.0:
	.section	.rodata,"a",@progbits
	.p2align	6, 0x0
	.amdhsa_kernel _ZN7rocprim17ROCPRIM_400000_NS6detail17trampoline_kernelINS0_14default_configENS1_21merge_config_selectorIiNS0_10empty_typeEEEZNS1_10merge_implIS3_N6thrust23THRUST_200600_302600_NS6detail15normal_iteratorINS9_10device_ptrIKiEEEESF_NSB_INSC_IiEEEEPS5_SI_SI_NS9_4lessIiEEEE10hipError_tPvRmT0_T1_T2_T3_T4_T5_mmT6_P12ihipStream_tbEUlT_E0_NS1_11comp_targetILNS1_3genE10ELNS1_11target_archE1200ELNS1_3gpuE4ELNS1_3repE0EEENS1_30default_config_static_selectorELNS0_4arch9wavefront6targetE0EEEvSP_
		.amdhsa_group_segment_fixed_size 0
		.amdhsa_private_segment_fixed_size 0
		.amdhsa_kernarg_size 88
		.amdhsa_user_sgpr_count 2
		.amdhsa_user_sgpr_dispatch_ptr 0
		.amdhsa_user_sgpr_queue_ptr 0
		.amdhsa_user_sgpr_kernarg_segment_ptr 1
		.amdhsa_user_sgpr_dispatch_id 0
		.amdhsa_user_sgpr_kernarg_preload_length 0
		.amdhsa_user_sgpr_kernarg_preload_offset 0
		.amdhsa_user_sgpr_private_segment_size 0
		.amdhsa_wavefront_size32 1
		.amdhsa_uses_dynamic_stack 0
		.amdhsa_enable_private_segment 0
		.amdhsa_system_sgpr_workgroup_id_x 1
		.amdhsa_system_sgpr_workgroup_id_y 0
		.amdhsa_system_sgpr_workgroup_id_z 0
		.amdhsa_system_sgpr_workgroup_info 0
		.amdhsa_system_vgpr_workitem_id 0
		.amdhsa_next_free_vgpr 1
		.amdhsa_next_free_sgpr 1
		.amdhsa_named_barrier_count 0
		.amdhsa_reserve_vcc 0
		.amdhsa_float_round_mode_32 0
		.amdhsa_float_round_mode_16_64 0
		.amdhsa_float_denorm_mode_32 3
		.amdhsa_float_denorm_mode_16_64 3
		.amdhsa_fp16_overflow 0
		.amdhsa_memory_ordered 1
		.amdhsa_forward_progress 1
		.amdhsa_inst_pref_size 0
		.amdhsa_round_robin_scheduling 0
		.amdhsa_exception_fp_ieee_invalid_op 0
		.amdhsa_exception_fp_denorm_src 0
		.amdhsa_exception_fp_ieee_div_zero 0
		.amdhsa_exception_fp_ieee_overflow 0
		.amdhsa_exception_fp_ieee_underflow 0
		.amdhsa_exception_fp_ieee_inexact 0
		.amdhsa_exception_int_div_zero 0
	.end_amdhsa_kernel
	.section	.text._ZN7rocprim17ROCPRIM_400000_NS6detail17trampoline_kernelINS0_14default_configENS1_21merge_config_selectorIiNS0_10empty_typeEEEZNS1_10merge_implIS3_N6thrust23THRUST_200600_302600_NS6detail15normal_iteratorINS9_10device_ptrIKiEEEESF_NSB_INSC_IiEEEEPS5_SI_SI_NS9_4lessIiEEEE10hipError_tPvRmT0_T1_T2_T3_T4_T5_mmT6_P12ihipStream_tbEUlT_E0_NS1_11comp_targetILNS1_3genE10ELNS1_11target_archE1200ELNS1_3gpuE4ELNS1_3repE0EEENS1_30default_config_static_selectorELNS0_4arch9wavefront6targetE0EEEvSP_,"axG",@progbits,_ZN7rocprim17ROCPRIM_400000_NS6detail17trampoline_kernelINS0_14default_configENS1_21merge_config_selectorIiNS0_10empty_typeEEEZNS1_10merge_implIS3_N6thrust23THRUST_200600_302600_NS6detail15normal_iteratorINS9_10device_ptrIKiEEEESF_NSB_INSC_IiEEEEPS5_SI_SI_NS9_4lessIiEEEE10hipError_tPvRmT0_T1_T2_T3_T4_T5_mmT6_P12ihipStream_tbEUlT_E0_NS1_11comp_targetILNS1_3genE10ELNS1_11target_archE1200ELNS1_3gpuE4ELNS1_3repE0EEENS1_30default_config_static_selectorELNS0_4arch9wavefront6targetE0EEEvSP_,comdat
.Lfunc_end16:
	.size	_ZN7rocprim17ROCPRIM_400000_NS6detail17trampoline_kernelINS0_14default_configENS1_21merge_config_selectorIiNS0_10empty_typeEEEZNS1_10merge_implIS3_N6thrust23THRUST_200600_302600_NS6detail15normal_iteratorINS9_10device_ptrIKiEEEESF_NSB_INSC_IiEEEEPS5_SI_SI_NS9_4lessIiEEEE10hipError_tPvRmT0_T1_T2_T3_T4_T5_mmT6_P12ihipStream_tbEUlT_E0_NS1_11comp_targetILNS1_3genE10ELNS1_11target_archE1200ELNS1_3gpuE4ELNS1_3repE0EEENS1_30default_config_static_selectorELNS0_4arch9wavefront6targetE0EEEvSP_, .Lfunc_end16-_ZN7rocprim17ROCPRIM_400000_NS6detail17trampoline_kernelINS0_14default_configENS1_21merge_config_selectorIiNS0_10empty_typeEEEZNS1_10merge_implIS3_N6thrust23THRUST_200600_302600_NS6detail15normal_iteratorINS9_10device_ptrIKiEEEESF_NSB_INSC_IiEEEEPS5_SI_SI_NS9_4lessIiEEEE10hipError_tPvRmT0_T1_T2_T3_T4_T5_mmT6_P12ihipStream_tbEUlT_E0_NS1_11comp_targetILNS1_3genE10ELNS1_11target_archE1200ELNS1_3gpuE4ELNS1_3repE0EEENS1_30default_config_static_selectorELNS0_4arch9wavefront6targetE0EEEvSP_
                                        ; -- End function
	.set _ZN7rocprim17ROCPRIM_400000_NS6detail17trampoline_kernelINS0_14default_configENS1_21merge_config_selectorIiNS0_10empty_typeEEEZNS1_10merge_implIS3_N6thrust23THRUST_200600_302600_NS6detail15normal_iteratorINS9_10device_ptrIKiEEEESF_NSB_INSC_IiEEEEPS5_SI_SI_NS9_4lessIiEEEE10hipError_tPvRmT0_T1_T2_T3_T4_T5_mmT6_P12ihipStream_tbEUlT_E0_NS1_11comp_targetILNS1_3genE10ELNS1_11target_archE1200ELNS1_3gpuE4ELNS1_3repE0EEENS1_30default_config_static_selectorELNS0_4arch9wavefront6targetE0EEEvSP_.num_vgpr, 0
	.set _ZN7rocprim17ROCPRIM_400000_NS6detail17trampoline_kernelINS0_14default_configENS1_21merge_config_selectorIiNS0_10empty_typeEEEZNS1_10merge_implIS3_N6thrust23THRUST_200600_302600_NS6detail15normal_iteratorINS9_10device_ptrIKiEEEESF_NSB_INSC_IiEEEEPS5_SI_SI_NS9_4lessIiEEEE10hipError_tPvRmT0_T1_T2_T3_T4_T5_mmT6_P12ihipStream_tbEUlT_E0_NS1_11comp_targetILNS1_3genE10ELNS1_11target_archE1200ELNS1_3gpuE4ELNS1_3repE0EEENS1_30default_config_static_selectorELNS0_4arch9wavefront6targetE0EEEvSP_.num_agpr, 0
	.set _ZN7rocprim17ROCPRIM_400000_NS6detail17trampoline_kernelINS0_14default_configENS1_21merge_config_selectorIiNS0_10empty_typeEEEZNS1_10merge_implIS3_N6thrust23THRUST_200600_302600_NS6detail15normal_iteratorINS9_10device_ptrIKiEEEESF_NSB_INSC_IiEEEEPS5_SI_SI_NS9_4lessIiEEEE10hipError_tPvRmT0_T1_T2_T3_T4_T5_mmT6_P12ihipStream_tbEUlT_E0_NS1_11comp_targetILNS1_3genE10ELNS1_11target_archE1200ELNS1_3gpuE4ELNS1_3repE0EEENS1_30default_config_static_selectorELNS0_4arch9wavefront6targetE0EEEvSP_.numbered_sgpr, 0
	.set _ZN7rocprim17ROCPRIM_400000_NS6detail17trampoline_kernelINS0_14default_configENS1_21merge_config_selectorIiNS0_10empty_typeEEEZNS1_10merge_implIS3_N6thrust23THRUST_200600_302600_NS6detail15normal_iteratorINS9_10device_ptrIKiEEEESF_NSB_INSC_IiEEEEPS5_SI_SI_NS9_4lessIiEEEE10hipError_tPvRmT0_T1_T2_T3_T4_T5_mmT6_P12ihipStream_tbEUlT_E0_NS1_11comp_targetILNS1_3genE10ELNS1_11target_archE1200ELNS1_3gpuE4ELNS1_3repE0EEENS1_30default_config_static_selectorELNS0_4arch9wavefront6targetE0EEEvSP_.num_named_barrier, 0
	.set _ZN7rocprim17ROCPRIM_400000_NS6detail17trampoline_kernelINS0_14default_configENS1_21merge_config_selectorIiNS0_10empty_typeEEEZNS1_10merge_implIS3_N6thrust23THRUST_200600_302600_NS6detail15normal_iteratorINS9_10device_ptrIKiEEEESF_NSB_INSC_IiEEEEPS5_SI_SI_NS9_4lessIiEEEE10hipError_tPvRmT0_T1_T2_T3_T4_T5_mmT6_P12ihipStream_tbEUlT_E0_NS1_11comp_targetILNS1_3genE10ELNS1_11target_archE1200ELNS1_3gpuE4ELNS1_3repE0EEENS1_30default_config_static_selectorELNS0_4arch9wavefront6targetE0EEEvSP_.private_seg_size, 0
	.set _ZN7rocprim17ROCPRIM_400000_NS6detail17trampoline_kernelINS0_14default_configENS1_21merge_config_selectorIiNS0_10empty_typeEEEZNS1_10merge_implIS3_N6thrust23THRUST_200600_302600_NS6detail15normal_iteratorINS9_10device_ptrIKiEEEESF_NSB_INSC_IiEEEEPS5_SI_SI_NS9_4lessIiEEEE10hipError_tPvRmT0_T1_T2_T3_T4_T5_mmT6_P12ihipStream_tbEUlT_E0_NS1_11comp_targetILNS1_3genE10ELNS1_11target_archE1200ELNS1_3gpuE4ELNS1_3repE0EEENS1_30default_config_static_selectorELNS0_4arch9wavefront6targetE0EEEvSP_.uses_vcc, 0
	.set _ZN7rocprim17ROCPRIM_400000_NS6detail17trampoline_kernelINS0_14default_configENS1_21merge_config_selectorIiNS0_10empty_typeEEEZNS1_10merge_implIS3_N6thrust23THRUST_200600_302600_NS6detail15normal_iteratorINS9_10device_ptrIKiEEEESF_NSB_INSC_IiEEEEPS5_SI_SI_NS9_4lessIiEEEE10hipError_tPvRmT0_T1_T2_T3_T4_T5_mmT6_P12ihipStream_tbEUlT_E0_NS1_11comp_targetILNS1_3genE10ELNS1_11target_archE1200ELNS1_3gpuE4ELNS1_3repE0EEENS1_30default_config_static_selectorELNS0_4arch9wavefront6targetE0EEEvSP_.uses_flat_scratch, 0
	.set _ZN7rocprim17ROCPRIM_400000_NS6detail17trampoline_kernelINS0_14default_configENS1_21merge_config_selectorIiNS0_10empty_typeEEEZNS1_10merge_implIS3_N6thrust23THRUST_200600_302600_NS6detail15normal_iteratorINS9_10device_ptrIKiEEEESF_NSB_INSC_IiEEEEPS5_SI_SI_NS9_4lessIiEEEE10hipError_tPvRmT0_T1_T2_T3_T4_T5_mmT6_P12ihipStream_tbEUlT_E0_NS1_11comp_targetILNS1_3genE10ELNS1_11target_archE1200ELNS1_3gpuE4ELNS1_3repE0EEENS1_30default_config_static_selectorELNS0_4arch9wavefront6targetE0EEEvSP_.has_dyn_sized_stack, 0
	.set _ZN7rocprim17ROCPRIM_400000_NS6detail17trampoline_kernelINS0_14default_configENS1_21merge_config_selectorIiNS0_10empty_typeEEEZNS1_10merge_implIS3_N6thrust23THRUST_200600_302600_NS6detail15normal_iteratorINS9_10device_ptrIKiEEEESF_NSB_INSC_IiEEEEPS5_SI_SI_NS9_4lessIiEEEE10hipError_tPvRmT0_T1_T2_T3_T4_T5_mmT6_P12ihipStream_tbEUlT_E0_NS1_11comp_targetILNS1_3genE10ELNS1_11target_archE1200ELNS1_3gpuE4ELNS1_3repE0EEENS1_30default_config_static_selectorELNS0_4arch9wavefront6targetE0EEEvSP_.has_recursion, 0
	.set _ZN7rocprim17ROCPRIM_400000_NS6detail17trampoline_kernelINS0_14default_configENS1_21merge_config_selectorIiNS0_10empty_typeEEEZNS1_10merge_implIS3_N6thrust23THRUST_200600_302600_NS6detail15normal_iteratorINS9_10device_ptrIKiEEEESF_NSB_INSC_IiEEEEPS5_SI_SI_NS9_4lessIiEEEE10hipError_tPvRmT0_T1_T2_T3_T4_T5_mmT6_P12ihipStream_tbEUlT_E0_NS1_11comp_targetILNS1_3genE10ELNS1_11target_archE1200ELNS1_3gpuE4ELNS1_3repE0EEENS1_30default_config_static_selectorELNS0_4arch9wavefront6targetE0EEEvSP_.has_indirect_call, 0
	.section	.AMDGPU.csdata,"",@progbits
; Kernel info:
; codeLenInByte = 0
; TotalNumSgprs: 0
; NumVgprs: 0
; ScratchSize: 0
; MemoryBound: 0
; FloatMode: 240
; IeeeMode: 1
; LDSByteSize: 0 bytes/workgroup (compile time only)
; SGPRBlocks: 0
; VGPRBlocks: 0
; NumSGPRsForWavesPerEU: 1
; NumVGPRsForWavesPerEU: 1
; NamedBarCnt: 0
; Occupancy: 16
; WaveLimiterHint : 0
; COMPUTE_PGM_RSRC2:SCRATCH_EN: 0
; COMPUTE_PGM_RSRC2:USER_SGPR: 2
; COMPUTE_PGM_RSRC2:TRAP_HANDLER: 0
; COMPUTE_PGM_RSRC2:TGID_X_EN: 1
; COMPUTE_PGM_RSRC2:TGID_Y_EN: 0
; COMPUTE_PGM_RSRC2:TGID_Z_EN: 0
; COMPUTE_PGM_RSRC2:TIDIG_COMP_CNT: 0
	.section	.text._ZN7rocprim17ROCPRIM_400000_NS6detail17trampoline_kernelINS0_14default_configENS1_21merge_config_selectorIiNS0_10empty_typeEEEZNS1_10merge_implIS3_N6thrust23THRUST_200600_302600_NS6detail15normal_iteratorINS9_10device_ptrIKiEEEESF_NSB_INSC_IiEEEEPS5_SI_SI_NS9_4lessIiEEEE10hipError_tPvRmT0_T1_T2_T3_T4_T5_mmT6_P12ihipStream_tbEUlT_E0_NS1_11comp_targetILNS1_3genE9ELNS1_11target_archE1100ELNS1_3gpuE3ELNS1_3repE0EEENS1_30default_config_static_selectorELNS0_4arch9wavefront6targetE0EEEvSP_,"axG",@progbits,_ZN7rocprim17ROCPRIM_400000_NS6detail17trampoline_kernelINS0_14default_configENS1_21merge_config_selectorIiNS0_10empty_typeEEEZNS1_10merge_implIS3_N6thrust23THRUST_200600_302600_NS6detail15normal_iteratorINS9_10device_ptrIKiEEEESF_NSB_INSC_IiEEEEPS5_SI_SI_NS9_4lessIiEEEE10hipError_tPvRmT0_T1_T2_T3_T4_T5_mmT6_P12ihipStream_tbEUlT_E0_NS1_11comp_targetILNS1_3genE9ELNS1_11target_archE1100ELNS1_3gpuE3ELNS1_3repE0EEENS1_30default_config_static_selectorELNS0_4arch9wavefront6targetE0EEEvSP_,comdat
	.protected	_ZN7rocprim17ROCPRIM_400000_NS6detail17trampoline_kernelINS0_14default_configENS1_21merge_config_selectorIiNS0_10empty_typeEEEZNS1_10merge_implIS3_N6thrust23THRUST_200600_302600_NS6detail15normal_iteratorINS9_10device_ptrIKiEEEESF_NSB_INSC_IiEEEEPS5_SI_SI_NS9_4lessIiEEEE10hipError_tPvRmT0_T1_T2_T3_T4_T5_mmT6_P12ihipStream_tbEUlT_E0_NS1_11comp_targetILNS1_3genE9ELNS1_11target_archE1100ELNS1_3gpuE3ELNS1_3repE0EEENS1_30default_config_static_selectorELNS0_4arch9wavefront6targetE0EEEvSP_ ; -- Begin function _ZN7rocprim17ROCPRIM_400000_NS6detail17trampoline_kernelINS0_14default_configENS1_21merge_config_selectorIiNS0_10empty_typeEEEZNS1_10merge_implIS3_N6thrust23THRUST_200600_302600_NS6detail15normal_iteratorINS9_10device_ptrIKiEEEESF_NSB_INSC_IiEEEEPS5_SI_SI_NS9_4lessIiEEEE10hipError_tPvRmT0_T1_T2_T3_T4_T5_mmT6_P12ihipStream_tbEUlT_E0_NS1_11comp_targetILNS1_3genE9ELNS1_11target_archE1100ELNS1_3gpuE3ELNS1_3repE0EEENS1_30default_config_static_selectorELNS0_4arch9wavefront6targetE0EEEvSP_
	.globl	_ZN7rocprim17ROCPRIM_400000_NS6detail17trampoline_kernelINS0_14default_configENS1_21merge_config_selectorIiNS0_10empty_typeEEEZNS1_10merge_implIS3_N6thrust23THRUST_200600_302600_NS6detail15normal_iteratorINS9_10device_ptrIKiEEEESF_NSB_INSC_IiEEEEPS5_SI_SI_NS9_4lessIiEEEE10hipError_tPvRmT0_T1_T2_T3_T4_T5_mmT6_P12ihipStream_tbEUlT_E0_NS1_11comp_targetILNS1_3genE9ELNS1_11target_archE1100ELNS1_3gpuE3ELNS1_3repE0EEENS1_30default_config_static_selectorELNS0_4arch9wavefront6targetE0EEEvSP_
	.p2align	8
	.type	_ZN7rocprim17ROCPRIM_400000_NS6detail17trampoline_kernelINS0_14default_configENS1_21merge_config_selectorIiNS0_10empty_typeEEEZNS1_10merge_implIS3_N6thrust23THRUST_200600_302600_NS6detail15normal_iteratorINS9_10device_ptrIKiEEEESF_NSB_INSC_IiEEEEPS5_SI_SI_NS9_4lessIiEEEE10hipError_tPvRmT0_T1_T2_T3_T4_T5_mmT6_P12ihipStream_tbEUlT_E0_NS1_11comp_targetILNS1_3genE9ELNS1_11target_archE1100ELNS1_3gpuE3ELNS1_3repE0EEENS1_30default_config_static_selectorELNS0_4arch9wavefront6targetE0EEEvSP_,@function
_ZN7rocprim17ROCPRIM_400000_NS6detail17trampoline_kernelINS0_14default_configENS1_21merge_config_selectorIiNS0_10empty_typeEEEZNS1_10merge_implIS3_N6thrust23THRUST_200600_302600_NS6detail15normal_iteratorINS9_10device_ptrIKiEEEESF_NSB_INSC_IiEEEEPS5_SI_SI_NS9_4lessIiEEEE10hipError_tPvRmT0_T1_T2_T3_T4_T5_mmT6_P12ihipStream_tbEUlT_E0_NS1_11comp_targetILNS1_3genE9ELNS1_11target_archE1100ELNS1_3gpuE3ELNS1_3repE0EEENS1_30default_config_static_selectorELNS0_4arch9wavefront6targetE0EEEvSP_: ; @_ZN7rocprim17ROCPRIM_400000_NS6detail17trampoline_kernelINS0_14default_configENS1_21merge_config_selectorIiNS0_10empty_typeEEEZNS1_10merge_implIS3_N6thrust23THRUST_200600_302600_NS6detail15normal_iteratorINS9_10device_ptrIKiEEEESF_NSB_INSC_IiEEEEPS5_SI_SI_NS9_4lessIiEEEE10hipError_tPvRmT0_T1_T2_T3_T4_T5_mmT6_P12ihipStream_tbEUlT_E0_NS1_11comp_targetILNS1_3genE9ELNS1_11target_archE1100ELNS1_3gpuE3ELNS1_3repE0EEENS1_30default_config_static_selectorELNS0_4arch9wavefront6targetE0EEEvSP_
; %bb.0:
	.section	.rodata,"a",@progbits
	.p2align	6, 0x0
	.amdhsa_kernel _ZN7rocprim17ROCPRIM_400000_NS6detail17trampoline_kernelINS0_14default_configENS1_21merge_config_selectorIiNS0_10empty_typeEEEZNS1_10merge_implIS3_N6thrust23THRUST_200600_302600_NS6detail15normal_iteratorINS9_10device_ptrIKiEEEESF_NSB_INSC_IiEEEEPS5_SI_SI_NS9_4lessIiEEEE10hipError_tPvRmT0_T1_T2_T3_T4_T5_mmT6_P12ihipStream_tbEUlT_E0_NS1_11comp_targetILNS1_3genE9ELNS1_11target_archE1100ELNS1_3gpuE3ELNS1_3repE0EEENS1_30default_config_static_selectorELNS0_4arch9wavefront6targetE0EEEvSP_
		.amdhsa_group_segment_fixed_size 0
		.amdhsa_private_segment_fixed_size 0
		.amdhsa_kernarg_size 88
		.amdhsa_user_sgpr_count 2
		.amdhsa_user_sgpr_dispatch_ptr 0
		.amdhsa_user_sgpr_queue_ptr 0
		.amdhsa_user_sgpr_kernarg_segment_ptr 1
		.amdhsa_user_sgpr_dispatch_id 0
		.amdhsa_user_sgpr_kernarg_preload_length 0
		.amdhsa_user_sgpr_kernarg_preload_offset 0
		.amdhsa_user_sgpr_private_segment_size 0
		.amdhsa_wavefront_size32 1
		.amdhsa_uses_dynamic_stack 0
		.amdhsa_enable_private_segment 0
		.amdhsa_system_sgpr_workgroup_id_x 1
		.amdhsa_system_sgpr_workgroup_id_y 0
		.amdhsa_system_sgpr_workgroup_id_z 0
		.amdhsa_system_sgpr_workgroup_info 0
		.amdhsa_system_vgpr_workitem_id 0
		.amdhsa_next_free_vgpr 1
		.amdhsa_next_free_sgpr 1
		.amdhsa_named_barrier_count 0
		.amdhsa_reserve_vcc 0
		.amdhsa_float_round_mode_32 0
		.amdhsa_float_round_mode_16_64 0
		.amdhsa_float_denorm_mode_32 3
		.amdhsa_float_denorm_mode_16_64 3
		.amdhsa_fp16_overflow 0
		.amdhsa_memory_ordered 1
		.amdhsa_forward_progress 1
		.amdhsa_inst_pref_size 0
		.amdhsa_round_robin_scheduling 0
		.amdhsa_exception_fp_ieee_invalid_op 0
		.amdhsa_exception_fp_denorm_src 0
		.amdhsa_exception_fp_ieee_div_zero 0
		.amdhsa_exception_fp_ieee_overflow 0
		.amdhsa_exception_fp_ieee_underflow 0
		.amdhsa_exception_fp_ieee_inexact 0
		.amdhsa_exception_int_div_zero 0
	.end_amdhsa_kernel
	.section	.text._ZN7rocprim17ROCPRIM_400000_NS6detail17trampoline_kernelINS0_14default_configENS1_21merge_config_selectorIiNS0_10empty_typeEEEZNS1_10merge_implIS3_N6thrust23THRUST_200600_302600_NS6detail15normal_iteratorINS9_10device_ptrIKiEEEESF_NSB_INSC_IiEEEEPS5_SI_SI_NS9_4lessIiEEEE10hipError_tPvRmT0_T1_T2_T3_T4_T5_mmT6_P12ihipStream_tbEUlT_E0_NS1_11comp_targetILNS1_3genE9ELNS1_11target_archE1100ELNS1_3gpuE3ELNS1_3repE0EEENS1_30default_config_static_selectorELNS0_4arch9wavefront6targetE0EEEvSP_,"axG",@progbits,_ZN7rocprim17ROCPRIM_400000_NS6detail17trampoline_kernelINS0_14default_configENS1_21merge_config_selectorIiNS0_10empty_typeEEEZNS1_10merge_implIS3_N6thrust23THRUST_200600_302600_NS6detail15normal_iteratorINS9_10device_ptrIKiEEEESF_NSB_INSC_IiEEEEPS5_SI_SI_NS9_4lessIiEEEE10hipError_tPvRmT0_T1_T2_T3_T4_T5_mmT6_P12ihipStream_tbEUlT_E0_NS1_11comp_targetILNS1_3genE9ELNS1_11target_archE1100ELNS1_3gpuE3ELNS1_3repE0EEENS1_30default_config_static_selectorELNS0_4arch9wavefront6targetE0EEEvSP_,comdat
.Lfunc_end17:
	.size	_ZN7rocprim17ROCPRIM_400000_NS6detail17trampoline_kernelINS0_14default_configENS1_21merge_config_selectorIiNS0_10empty_typeEEEZNS1_10merge_implIS3_N6thrust23THRUST_200600_302600_NS6detail15normal_iteratorINS9_10device_ptrIKiEEEESF_NSB_INSC_IiEEEEPS5_SI_SI_NS9_4lessIiEEEE10hipError_tPvRmT0_T1_T2_T3_T4_T5_mmT6_P12ihipStream_tbEUlT_E0_NS1_11comp_targetILNS1_3genE9ELNS1_11target_archE1100ELNS1_3gpuE3ELNS1_3repE0EEENS1_30default_config_static_selectorELNS0_4arch9wavefront6targetE0EEEvSP_, .Lfunc_end17-_ZN7rocprim17ROCPRIM_400000_NS6detail17trampoline_kernelINS0_14default_configENS1_21merge_config_selectorIiNS0_10empty_typeEEEZNS1_10merge_implIS3_N6thrust23THRUST_200600_302600_NS6detail15normal_iteratorINS9_10device_ptrIKiEEEESF_NSB_INSC_IiEEEEPS5_SI_SI_NS9_4lessIiEEEE10hipError_tPvRmT0_T1_T2_T3_T4_T5_mmT6_P12ihipStream_tbEUlT_E0_NS1_11comp_targetILNS1_3genE9ELNS1_11target_archE1100ELNS1_3gpuE3ELNS1_3repE0EEENS1_30default_config_static_selectorELNS0_4arch9wavefront6targetE0EEEvSP_
                                        ; -- End function
	.set _ZN7rocprim17ROCPRIM_400000_NS6detail17trampoline_kernelINS0_14default_configENS1_21merge_config_selectorIiNS0_10empty_typeEEEZNS1_10merge_implIS3_N6thrust23THRUST_200600_302600_NS6detail15normal_iteratorINS9_10device_ptrIKiEEEESF_NSB_INSC_IiEEEEPS5_SI_SI_NS9_4lessIiEEEE10hipError_tPvRmT0_T1_T2_T3_T4_T5_mmT6_P12ihipStream_tbEUlT_E0_NS1_11comp_targetILNS1_3genE9ELNS1_11target_archE1100ELNS1_3gpuE3ELNS1_3repE0EEENS1_30default_config_static_selectorELNS0_4arch9wavefront6targetE0EEEvSP_.num_vgpr, 0
	.set _ZN7rocprim17ROCPRIM_400000_NS6detail17trampoline_kernelINS0_14default_configENS1_21merge_config_selectorIiNS0_10empty_typeEEEZNS1_10merge_implIS3_N6thrust23THRUST_200600_302600_NS6detail15normal_iteratorINS9_10device_ptrIKiEEEESF_NSB_INSC_IiEEEEPS5_SI_SI_NS9_4lessIiEEEE10hipError_tPvRmT0_T1_T2_T3_T4_T5_mmT6_P12ihipStream_tbEUlT_E0_NS1_11comp_targetILNS1_3genE9ELNS1_11target_archE1100ELNS1_3gpuE3ELNS1_3repE0EEENS1_30default_config_static_selectorELNS0_4arch9wavefront6targetE0EEEvSP_.num_agpr, 0
	.set _ZN7rocprim17ROCPRIM_400000_NS6detail17trampoline_kernelINS0_14default_configENS1_21merge_config_selectorIiNS0_10empty_typeEEEZNS1_10merge_implIS3_N6thrust23THRUST_200600_302600_NS6detail15normal_iteratorINS9_10device_ptrIKiEEEESF_NSB_INSC_IiEEEEPS5_SI_SI_NS9_4lessIiEEEE10hipError_tPvRmT0_T1_T2_T3_T4_T5_mmT6_P12ihipStream_tbEUlT_E0_NS1_11comp_targetILNS1_3genE9ELNS1_11target_archE1100ELNS1_3gpuE3ELNS1_3repE0EEENS1_30default_config_static_selectorELNS0_4arch9wavefront6targetE0EEEvSP_.numbered_sgpr, 0
	.set _ZN7rocprim17ROCPRIM_400000_NS6detail17trampoline_kernelINS0_14default_configENS1_21merge_config_selectorIiNS0_10empty_typeEEEZNS1_10merge_implIS3_N6thrust23THRUST_200600_302600_NS6detail15normal_iteratorINS9_10device_ptrIKiEEEESF_NSB_INSC_IiEEEEPS5_SI_SI_NS9_4lessIiEEEE10hipError_tPvRmT0_T1_T2_T3_T4_T5_mmT6_P12ihipStream_tbEUlT_E0_NS1_11comp_targetILNS1_3genE9ELNS1_11target_archE1100ELNS1_3gpuE3ELNS1_3repE0EEENS1_30default_config_static_selectorELNS0_4arch9wavefront6targetE0EEEvSP_.num_named_barrier, 0
	.set _ZN7rocprim17ROCPRIM_400000_NS6detail17trampoline_kernelINS0_14default_configENS1_21merge_config_selectorIiNS0_10empty_typeEEEZNS1_10merge_implIS3_N6thrust23THRUST_200600_302600_NS6detail15normal_iteratorINS9_10device_ptrIKiEEEESF_NSB_INSC_IiEEEEPS5_SI_SI_NS9_4lessIiEEEE10hipError_tPvRmT0_T1_T2_T3_T4_T5_mmT6_P12ihipStream_tbEUlT_E0_NS1_11comp_targetILNS1_3genE9ELNS1_11target_archE1100ELNS1_3gpuE3ELNS1_3repE0EEENS1_30default_config_static_selectorELNS0_4arch9wavefront6targetE0EEEvSP_.private_seg_size, 0
	.set _ZN7rocprim17ROCPRIM_400000_NS6detail17trampoline_kernelINS0_14default_configENS1_21merge_config_selectorIiNS0_10empty_typeEEEZNS1_10merge_implIS3_N6thrust23THRUST_200600_302600_NS6detail15normal_iteratorINS9_10device_ptrIKiEEEESF_NSB_INSC_IiEEEEPS5_SI_SI_NS9_4lessIiEEEE10hipError_tPvRmT0_T1_T2_T3_T4_T5_mmT6_P12ihipStream_tbEUlT_E0_NS1_11comp_targetILNS1_3genE9ELNS1_11target_archE1100ELNS1_3gpuE3ELNS1_3repE0EEENS1_30default_config_static_selectorELNS0_4arch9wavefront6targetE0EEEvSP_.uses_vcc, 0
	.set _ZN7rocprim17ROCPRIM_400000_NS6detail17trampoline_kernelINS0_14default_configENS1_21merge_config_selectorIiNS0_10empty_typeEEEZNS1_10merge_implIS3_N6thrust23THRUST_200600_302600_NS6detail15normal_iteratorINS9_10device_ptrIKiEEEESF_NSB_INSC_IiEEEEPS5_SI_SI_NS9_4lessIiEEEE10hipError_tPvRmT0_T1_T2_T3_T4_T5_mmT6_P12ihipStream_tbEUlT_E0_NS1_11comp_targetILNS1_3genE9ELNS1_11target_archE1100ELNS1_3gpuE3ELNS1_3repE0EEENS1_30default_config_static_selectorELNS0_4arch9wavefront6targetE0EEEvSP_.uses_flat_scratch, 0
	.set _ZN7rocprim17ROCPRIM_400000_NS6detail17trampoline_kernelINS0_14default_configENS1_21merge_config_selectorIiNS0_10empty_typeEEEZNS1_10merge_implIS3_N6thrust23THRUST_200600_302600_NS6detail15normal_iteratorINS9_10device_ptrIKiEEEESF_NSB_INSC_IiEEEEPS5_SI_SI_NS9_4lessIiEEEE10hipError_tPvRmT0_T1_T2_T3_T4_T5_mmT6_P12ihipStream_tbEUlT_E0_NS1_11comp_targetILNS1_3genE9ELNS1_11target_archE1100ELNS1_3gpuE3ELNS1_3repE0EEENS1_30default_config_static_selectorELNS0_4arch9wavefront6targetE0EEEvSP_.has_dyn_sized_stack, 0
	.set _ZN7rocprim17ROCPRIM_400000_NS6detail17trampoline_kernelINS0_14default_configENS1_21merge_config_selectorIiNS0_10empty_typeEEEZNS1_10merge_implIS3_N6thrust23THRUST_200600_302600_NS6detail15normal_iteratorINS9_10device_ptrIKiEEEESF_NSB_INSC_IiEEEEPS5_SI_SI_NS9_4lessIiEEEE10hipError_tPvRmT0_T1_T2_T3_T4_T5_mmT6_P12ihipStream_tbEUlT_E0_NS1_11comp_targetILNS1_3genE9ELNS1_11target_archE1100ELNS1_3gpuE3ELNS1_3repE0EEENS1_30default_config_static_selectorELNS0_4arch9wavefront6targetE0EEEvSP_.has_recursion, 0
	.set _ZN7rocprim17ROCPRIM_400000_NS6detail17trampoline_kernelINS0_14default_configENS1_21merge_config_selectorIiNS0_10empty_typeEEEZNS1_10merge_implIS3_N6thrust23THRUST_200600_302600_NS6detail15normal_iteratorINS9_10device_ptrIKiEEEESF_NSB_INSC_IiEEEEPS5_SI_SI_NS9_4lessIiEEEE10hipError_tPvRmT0_T1_T2_T3_T4_T5_mmT6_P12ihipStream_tbEUlT_E0_NS1_11comp_targetILNS1_3genE9ELNS1_11target_archE1100ELNS1_3gpuE3ELNS1_3repE0EEENS1_30default_config_static_selectorELNS0_4arch9wavefront6targetE0EEEvSP_.has_indirect_call, 0
	.section	.AMDGPU.csdata,"",@progbits
; Kernel info:
; codeLenInByte = 0
; TotalNumSgprs: 0
; NumVgprs: 0
; ScratchSize: 0
; MemoryBound: 0
; FloatMode: 240
; IeeeMode: 1
; LDSByteSize: 0 bytes/workgroup (compile time only)
; SGPRBlocks: 0
; VGPRBlocks: 0
; NumSGPRsForWavesPerEU: 1
; NumVGPRsForWavesPerEU: 1
; NamedBarCnt: 0
; Occupancy: 16
; WaveLimiterHint : 0
; COMPUTE_PGM_RSRC2:SCRATCH_EN: 0
; COMPUTE_PGM_RSRC2:USER_SGPR: 2
; COMPUTE_PGM_RSRC2:TRAP_HANDLER: 0
; COMPUTE_PGM_RSRC2:TGID_X_EN: 1
; COMPUTE_PGM_RSRC2:TGID_Y_EN: 0
; COMPUTE_PGM_RSRC2:TGID_Z_EN: 0
; COMPUTE_PGM_RSRC2:TIDIG_COMP_CNT: 0
	.section	.text._ZN7rocprim17ROCPRIM_400000_NS6detail17trampoline_kernelINS0_14default_configENS1_21merge_config_selectorIiNS0_10empty_typeEEEZNS1_10merge_implIS3_N6thrust23THRUST_200600_302600_NS6detail15normal_iteratorINS9_10device_ptrIKiEEEESF_NSB_INSC_IiEEEEPS5_SI_SI_NS9_4lessIiEEEE10hipError_tPvRmT0_T1_T2_T3_T4_T5_mmT6_P12ihipStream_tbEUlT_E0_NS1_11comp_targetILNS1_3genE8ELNS1_11target_archE1030ELNS1_3gpuE2ELNS1_3repE0EEENS1_30default_config_static_selectorELNS0_4arch9wavefront6targetE0EEEvSP_,"axG",@progbits,_ZN7rocprim17ROCPRIM_400000_NS6detail17trampoline_kernelINS0_14default_configENS1_21merge_config_selectorIiNS0_10empty_typeEEEZNS1_10merge_implIS3_N6thrust23THRUST_200600_302600_NS6detail15normal_iteratorINS9_10device_ptrIKiEEEESF_NSB_INSC_IiEEEEPS5_SI_SI_NS9_4lessIiEEEE10hipError_tPvRmT0_T1_T2_T3_T4_T5_mmT6_P12ihipStream_tbEUlT_E0_NS1_11comp_targetILNS1_3genE8ELNS1_11target_archE1030ELNS1_3gpuE2ELNS1_3repE0EEENS1_30default_config_static_selectorELNS0_4arch9wavefront6targetE0EEEvSP_,comdat
	.protected	_ZN7rocprim17ROCPRIM_400000_NS6detail17trampoline_kernelINS0_14default_configENS1_21merge_config_selectorIiNS0_10empty_typeEEEZNS1_10merge_implIS3_N6thrust23THRUST_200600_302600_NS6detail15normal_iteratorINS9_10device_ptrIKiEEEESF_NSB_INSC_IiEEEEPS5_SI_SI_NS9_4lessIiEEEE10hipError_tPvRmT0_T1_T2_T3_T4_T5_mmT6_P12ihipStream_tbEUlT_E0_NS1_11comp_targetILNS1_3genE8ELNS1_11target_archE1030ELNS1_3gpuE2ELNS1_3repE0EEENS1_30default_config_static_selectorELNS0_4arch9wavefront6targetE0EEEvSP_ ; -- Begin function _ZN7rocprim17ROCPRIM_400000_NS6detail17trampoline_kernelINS0_14default_configENS1_21merge_config_selectorIiNS0_10empty_typeEEEZNS1_10merge_implIS3_N6thrust23THRUST_200600_302600_NS6detail15normal_iteratorINS9_10device_ptrIKiEEEESF_NSB_INSC_IiEEEEPS5_SI_SI_NS9_4lessIiEEEE10hipError_tPvRmT0_T1_T2_T3_T4_T5_mmT6_P12ihipStream_tbEUlT_E0_NS1_11comp_targetILNS1_3genE8ELNS1_11target_archE1030ELNS1_3gpuE2ELNS1_3repE0EEENS1_30default_config_static_selectorELNS0_4arch9wavefront6targetE0EEEvSP_
	.globl	_ZN7rocprim17ROCPRIM_400000_NS6detail17trampoline_kernelINS0_14default_configENS1_21merge_config_selectorIiNS0_10empty_typeEEEZNS1_10merge_implIS3_N6thrust23THRUST_200600_302600_NS6detail15normal_iteratorINS9_10device_ptrIKiEEEESF_NSB_INSC_IiEEEEPS5_SI_SI_NS9_4lessIiEEEE10hipError_tPvRmT0_T1_T2_T3_T4_T5_mmT6_P12ihipStream_tbEUlT_E0_NS1_11comp_targetILNS1_3genE8ELNS1_11target_archE1030ELNS1_3gpuE2ELNS1_3repE0EEENS1_30default_config_static_selectorELNS0_4arch9wavefront6targetE0EEEvSP_
	.p2align	8
	.type	_ZN7rocprim17ROCPRIM_400000_NS6detail17trampoline_kernelINS0_14default_configENS1_21merge_config_selectorIiNS0_10empty_typeEEEZNS1_10merge_implIS3_N6thrust23THRUST_200600_302600_NS6detail15normal_iteratorINS9_10device_ptrIKiEEEESF_NSB_INSC_IiEEEEPS5_SI_SI_NS9_4lessIiEEEE10hipError_tPvRmT0_T1_T2_T3_T4_T5_mmT6_P12ihipStream_tbEUlT_E0_NS1_11comp_targetILNS1_3genE8ELNS1_11target_archE1030ELNS1_3gpuE2ELNS1_3repE0EEENS1_30default_config_static_selectorELNS0_4arch9wavefront6targetE0EEEvSP_,@function
_ZN7rocprim17ROCPRIM_400000_NS6detail17trampoline_kernelINS0_14default_configENS1_21merge_config_selectorIiNS0_10empty_typeEEEZNS1_10merge_implIS3_N6thrust23THRUST_200600_302600_NS6detail15normal_iteratorINS9_10device_ptrIKiEEEESF_NSB_INSC_IiEEEEPS5_SI_SI_NS9_4lessIiEEEE10hipError_tPvRmT0_T1_T2_T3_T4_T5_mmT6_P12ihipStream_tbEUlT_E0_NS1_11comp_targetILNS1_3genE8ELNS1_11target_archE1030ELNS1_3gpuE2ELNS1_3repE0EEENS1_30default_config_static_selectorELNS0_4arch9wavefront6targetE0EEEvSP_: ; @_ZN7rocprim17ROCPRIM_400000_NS6detail17trampoline_kernelINS0_14default_configENS1_21merge_config_selectorIiNS0_10empty_typeEEEZNS1_10merge_implIS3_N6thrust23THRUST_200600_302600_NS6detail15normal_iteratorINS9_10device_ptrIKiEEEESF_NSB_INSC_IiEEEEPS5_SI_SI_NS9_4lessIiEEEE10hipError_tPvRmT0_T1_T2_T3_T4_T5_mmT6_P12ihipStream_tbEUlT_E0_NS1_11comp_targetILNS1_3genE8ELNS1_11target_archE1030ELNS1_3gpuE2ELNS1_3repE0EEENS1_30default_config_static_selectorELNS0_4arch9wavefront6targetE0EEEvSP_
; %bb.0:
	.section	.rodata,"a",@progbits
	.p2align	6, 0x0
	.amdhsa_kernel _ZN7rocprim17ROCPRIM_400000_NS6detail17trampoline_kernelINS0_14default_configENS1_21merge_config_selectorIiNS0_10empty_typeEEEZNS1_10merge_implIS3_N6thrust23THRUST_200600_302600_NS6detail15normal_iteratorINS9_10device_ptrIKiEEEESF_NSB_INSC_IiEEEEPS5_SI_SI_NS9_4lessIiEEEE10hipError_tPvRmT0_T1_T2_T3_T4_T5_mmT6_P12ihipStream_tbEUlT_E0_NS1_11comp_targetILNS1_3genE8ELNS1_11target_archE1030ELNS1_3gpuE2ELNS1_3repE0EEENS1_30default_config_static_selectorELNS0_4arch9wavefront6targetE0EEEvSP_
		.amdhsa_group_segment_fixed_size 0
		.amdhsa_private_segment_fixed_size 0
		.amdhsa_kernarg_size 88
		.amdhsa_user_sgpr_count 2
		.amdhsa_user_sgpr_dispatch_ptr 0
		.amdhsa_user_sgpr_queue_ptr 0
		.amdhsa_user_sgpr_kernarg_segment_ptr 1
		.amdhsa_user_sgpr_dispatch_id 0
		.amdhsa_user_sgpr_kernarg_preload_length 0
		.amdhsa_user_sgpr_kernarg_preload_offset 0
		.amdhsa_user_sgpr_private_segment_size 0
		.amdhsa_wavefront_size32 1
		.amdhsa_uses_dynamic_stack 0
		.amdhsa_enable_private_segment 0
		.amdhsa_system_sgpr_workgroup_id_x 1
		.amdhsa_system_sgpr_workgroup_id_y 0
		.amdhsa_system_sgpr_workgroup_id_z 0
		.amdhsa_system_sgpr_workgroup_info 0
		.amdhsa_system_vgpr_workitem_id 0
		.amdhsa_next_free_vgpr 1
		.amdhsa_next_free_sgpr 1
		.amdhsa_named_barrier_count 0
		.amdhsa_reserve_vcc 0
		.amdhsa_float_round_mode_32 0
		.amdhsa_float_round_mode_16_64 0
		.amdhsa_float_denorm_mode_32 3
		.amdhsa_float_denorm_mode_16_64 3
		.amdhsa_fp16_overflow 0
		.amdhsa_memory_ordered 1
		.amdhsa_forward_progress 1
		.amdhsa_inst_pref_size 0
		.amdhsa_round_robin_scheduling 0
		.amdhsa_exception_fp_ieee_invalid_op 0
		.amdhsa_exception_fp_denorm_src 0
		.amdhsa_exception_fp_ieee_div_zero 0
		.amdhsa_exception_fp_ieee_overflow 0
		.amdhsa_exception_fp_ieee_underflow 0
		.amdhsa_exception_fp_ieee_inexact 0
		.amdhsa_exception_int_div_zero 0
	.end_amdhsa_kernel
	.section	.text._ZN7rocprim17ROCPRIM_400000_NS6detail17trampoline_kernelINS0_14default_configENS1_21merge_config_selectorIiNS0_10empty_typeEEEZNS1_10merge_implIS3_N6thrust23THRUST_200600_302600_NS6detail15normal_iteratorINS9_10device_ptrIKiEEEESF_NSB_INSC_IiEEEEPS5_SI_SI_NS9_4lessIiEEEE10hipError_tPvRmT0_T1_T2_T3_T4_T5_mmT6_P12ihipStream_tbEUlT_E0_NS1_11comp_targetILNS1_3genE8ELNS1_11target_archE1030ELNS1_3gpuE2ELNS1_3repE0EEENS1_30default_config_static_selectorELNS0_4arch9wavefront6targetE0EEEvSP_,"axG",@progbits,_ZN7rocprim17ROCPRIM_400000_NS6detail17trampoline_kernelINS0_14default_configENS1_21merge_config_selectorIiNS0_10empty_typeEEEZNS1_10merge_implIS3_N6thrust23THRUST_200600_302600_NS6detail15normal_iteratorINS9_10device_ptrIKiEEEESF_NSB_INSC_IiEEEEPS5_SI_SI_NS9_4lessIiEEEE10hipError_tPvRmT0_T1_T2_T3_T4_T5_mmT6_P12ihipStream_tbEUlT_E0_NS1_11comp_targetILNS1_3genE8ELNS1_11target_archE1030ELNS1_3gpuE2ELNS1_3repE0EEENS1_30default_config_static_selectorELNS0_4arch9wavefront6targetE0EEEvSP_,comdat
.Lfunc_end18:
	.size	_ZN7rocprim17ROCPRIM_400000_NS6detail17trampoline_kernelINS0_14default_configENS1_21merge_config_selectorIiNS0_10empty_typeEEEZNS1_10merge_implIS3_N6thrust23THRUST_200600_302600_NS6detail15normal_iteratorINS9_10device_ptrIKiEEEESF_NSB_INSC_IiEEEEPS5_SI_SI_NS9_4lessIiEEEE10hipError_tPvRmT0_T1_T2_T3_T4_T5_mmT6_P12ihipStream_tbEUlT_E0_NS1_11comp_targetILNS1_3genE8ELNS1_11target_archE1030ELNS1_3gpuE2ELNS1_3repE0EEENS1_30default_config_static_selectorELNS0_4arch9wavefront6targetE0EEEvSP_, .Lfunc_end18-_ZN7rocprim17ROCPRIM_400000_NS6detail17trampoline_kernelINS0_14default_configENS1_21merge_config_selectorIiNS0_10empty_typeEEEZNS1_10merge_implIS3_N6thrust23THRUST_200600_302600_NS6detail15normal_iteratorINS9_10device_ptrIKiEEEESF_NSB_INSC_IiEEEEPS5_SI_SI_NS9_4lessIiEEEE10hipError_tPvRmT0_T1_T2_T3_T4_T5_mmT6_P12ihipStream_tbEUlT_E0_NS1_11comp_targetILNS1_3genE8ELNS1_11target_archE1030ELNS1_3gpuE2ELNS1_3repE0EEENS1_30default_config_static_selectorELNS0_4arch9wavefront6targetE0EEEvSP_
                                        ; -- End function
	.set _ZN7rocprim17ROCPRIM_400000_NS6detail17trampoline_kernelINS0_14default_configENS1_21merge_config_selectorIiNS0_10empty_typeEEEZNS1_10merge_implIS3_N6thrust23THRUST_200600_302600_NS6detail15normal_iteratorINS9_10device_ptrIKiEEEESF_NSB_INSC_IiEEEEPS5_SI_SI_NS9_4lessIiEEEE10hipError_tPvRmT0_T1_T2_T3_T4_T5_mmT6_P12ihipStream_tbEUlT_E0_NS1_11comp_targetILNS1_3genE8ELNS1_11target_archE1030ELNS1_3gpuE2ELNS1_3repE0EEENS1_30default_config_static_selectorELNS0_4arch9wavefront6targetE0EEEvSP_.num_vgpr, 0
	.set _ZN7rocprim17ROCPRIM_400000_NS6detail17trampoline_kernelINS0_14default_configENS1_21merge_config_selectorIiNS0_10empty_typeEEEZNS1_10merge_implIS3_N6thrust23THRUST_200600_302600_NS6detail15normal_iteratorINS9_10device_ptrIKiEEEESF_NSB_INSC_IiEEEEPS5_SI_SI_NS9_4lessIiEEEE10hipError_tPvRmT0_T1_T2_T3_T4_T5_mmT6_P12ihipStream_tbEUlT_E0_NS1_11comp_targetILNS1_3genE8ELNS1_11target_archE1030ELNS1_3gpuE2ELNS1_3repE0EEENS1_30default_config_static_selectorELNS0_4arch9wavefront6targetE0EEEvSP_.num_agpr, 0
	.set _ZN7rocprim17ROCPRIM_400000_NS6detail17trampoline_kernelINS0_14default_configENS1_21merge_config_selectorIiNS0_10empty_typeEEEZNS1_10merge_implIS3_N6thrust23THRUST_200600_302600_NS6detail15normal_iteratorINS9_10device_ptrIKiEEEESF_NSB_INSC_IiEEEEPS5_SI_SI_NS9_4lessIiEEEE10hipError_tPvRmT0_T1_T2_T3_T4_T5_mmT6_P12ihipStream_tbEUlT_E0_NS1_11comp_targetILNS1_3genE8ELNS1_11target_archE1030ELNS1_3gpuE2ELNS1_3repE0EEENS1_30default_config_static_selectorELNS0_4arch9wavefront6targetE0EEEvSP_.numbered_sgpr, 0
	.set _ZN7rocprim17ROCPRIM_400000_NS6detail17trampoline_kernelINS0_14default_configENS1_21merge_config_selectorIiNS0_10empty_typeEEEZNS1_10merge_implIS3_N6thrust23THRUST_200600_302600_NS6detail15normal_iteratorINS9_10device_ptrIKiEEEESF_NSB_INSC_IiEEEEPS5_SI_SI_NS9_4lessIiEEEE10hipError_tPvRmT0_T1_T2_T3_T4_T5_mmT6_P12ihipStream_tbEUlT_E0_NS1_11comp_targetILNS1_3genE8ELNS1_11target_archE1030ELNS1_3gpuE2ELNS1_3repE0EEENS1_30default_config_static_selectorELNS0_4arch9wavefront6targetE0EEEvSP_.num_named_barrier, 0
	.set _ZN7rocprim17ROCPRIM_400000_NS6detail17trampoline_kernelINS0_14default_configENS1_21merge_config_selectorIiNS0_10empty_typeEEEZNS1_10merge_implIS3_N6thrust23THRUST_200600_302600_NS6detail15normal_iteratorINS9_10device_ptrIKiEEEESF_NSB_INSC_IiEEEEPS5_SI_SI_NS9_4lessIiEEEE10hipError_tPvRmT0_T1_T2_T3_T4_T5_mmT6_P12ihipStream_tbEUlT_E0_NS1_11comp_targetILNS1_3genE8ELNS1_11target_archE1030ELNS1_3gpuE2ELNS1_3repE0EEENS1_30default_config_static_selectorELNS0_4arch9wavefront6targetE0EEEvSP_.private_seg_size, 0
	.set _ZN7rocprim17ROCPRIM_400000_NS6detail17trampoline_kernelINS0_14default_configENS1_21merge_config_selectorIiNS0_10empty_typeEEEZNS1_10merge_implIS3_N6thrust23THRUST_200600_302600_NS6detail15normal_iteratorINS9_10device_ptrIKiEEEESF_NSB_INSC_IiEEEEPS5_SI_SI_NS9_4lessIiEEEE10hipError_tPvRmT0_T1_T2_T3_T4_T5_mmT6_P12ihipStream_tbEUlT_E0_NS1_11comp_targetILNS1_3genE8ELNS1_11target_archE1030ELNS1_3gpuE2ELNS1_3repE0EEENS1_30default_config_static_selectorELNS0_4arch9wavefront6targetE0EEEvSP_.uses_vcc, 0
	.set _ZN7rocprim17ROCPRIM_400000_NS6detail17trampoline_kernelINS0_14default_configENS1_21merge_config_selectorIiNS0_10empty_typeEEEZNS1_10merge_implIS3_N6thrust23THRUST_200600_302600_NS6detail15normal_iteratorINS9_10device_ptrIKiEEEESF_NSB_INSC_IiEEEEPS5_SI_SI_NS9_4lessIiEEEE10hipError_tPvRmT0_T1_T2_T3_T4_T5_mmT6_P12ihipStream_tbEUlT_E0_NS1_11comp_targetILNS1_3genE8ELNS1_11target_archE1030ELNS1_3gpuE2ELNS1_3repE0EEENS1_30default_config_static_selectorELNS0_4arch9wavefront6targetE0EEEvSP_.uses_flat_scratch, 0
	.set _ZN7rocprim17ROCPRIM_400000_NS6detail17trampoline_kernelINS0_14default_configENS1_21merge_config_selectorIiNS0_10empty_typeEEEZNS1_10merge_implIS3_N6thrust23THRUST_200600_302600_NS6detail15normal_iteratorINS9_10device_ptrIKiEEEESF_NSB_INSC_IiEEEEPS5_SI_SI_NS9_4lessIiEEEE10hipError_tPvRmT0_T1_T2_T3_T4_T5_mmT6_P12ihipStream_tbEUlT_E0_NS1_11comp_targetILNS1_3genE8ELNS1_11target_archE1030ELNS1_3gpuE2ELNS1_3repE0EEENS1_30default_config_static_selectorELNS0_4arch9wavefront6targetE0EEEvSP_.has_dyn_sized_stack, 0
	.set _ZN7rocprim17ROCPRIM_400000_NS6detail17trampoline_kernelINS0_14default_configENS1_21merge_config_selectorIiNS0_10empty_typeEEEZNS1_10merge_implIS3_N6thrust23THRUST_200600_302600_NS6detail15normal_iteratorINS9_10device_ptrIKiEEEESF_NSB_INSC_IiEEEEPS5_SI_SI_NS9_4lessIiEEEE10hipError_tPvRmT0_T1_T2_T3_T4_T5_mmT6_P12ihipStream_tbEUlT_E0_NS1_11comp_targetILNS1_3genE8ELNS1_11target_archE1030ELNS1_3gpuE2ELNS1_3repE0EEENS1_30default_config_static_selectorELNS0_4arch9wavefront6targetE0EEEvSP_.has_recursion, 0
	.set _ZN7rocprim17ROCPRIM_400000_NS6detail17trampoline_kernelINS0_14default_configENS1_21merge_config_selectorIiNS0_10empty_typeEEEZNS1_10merge_implIS3_N6thrust23THRUST_200600_302600_NS6detail15normal_iteratorINS9_10device_ptrIKiEEEESF_NSB_INSC_IiEEEEPS5_SI_SI_NS9_4lessIiEEEE10hipError_tPvRmT0_T1_T2_T3_T4_T5_mmT6_P12ihipStream_tbEUlT_E0_NS1_11comp_targetILNS1_3genE8ELNS1_11target_archE1030ELNS1_3gpuE2ELNS1_3repE0EEENS1_30default_config_static_selectorELNS0_4arch9wavefront6targetE0EEEvSP_.has_indirect_call, 0
	.section	.AMDGPU.csdata,"",@progbits
; Kernel info:
; codeLenInByte = 0
; TotalNumSgprs: 0
; NumVgprs: 0
; ScratchSize: 0
; MemoryBound: 0
; FloatMode: 240
; IeeeMode: 1
; LDSByteSize: 0 bytes/workgroup (compile time only)
; SGPRBlocks: 0
; VGPRBlocks: 0
; NumSGPRsForWavesPerEU: 1
; NumVGPRsForWavesPerEU: 1
; NamedBarCnt: 0
; Occupancy: 16
; WaveLimiterHint : 0
; COMPUTE_PGM_RSRC2:SCRATCH_EN: 0
; COMPUTE_PGM_RSRC2:USER_SGPR: 2
; COMPUTE_PGM_RSRC2:TRAP_HANDLER: 0
; COMPUTE_PGM_RSRC2:TGID_X_EN: 1
; COMPUTE_PGM_RSRC2:TGID_Y_EN: 0
; COMPUTE_PGM_RSRC2:TGID_Z_EN: 0
; COMPUTE_PGM_RSRC2:TIDIG_COMP_CNT: 0
	.section	.text._ZN7rocprim17ROCPRIM_400000_NS6detail31init_lookback_scan_state_kernelINS1_19lookback_scan_stateIlLb0ELb1EEENS1_16ordered_block_idIjEEEEvT_jT0_jPNS7_10value_typeE,"axG",@progbits,_ZN7rocprim17ROCPRIM_400000_NS6detail31init_lookback_scan_state_kernelINS1_19lookback_scan_stateIlLb0ELb1EEENS1_16ordered_block_idIjEEEEvT_jT0_jPNS7_10value_typeE,comdat
	.protected	_ZN7rocprim17ROCPRIM_400000_NS6detail31init_lookback_scan_state_kernelINS1_19lookback_scan_stateIlLb0ELb1EEENS1_16ordered_block_idIjEEEEvT_jT0_jPNS7_10value_typeE ; -- Begin function _ZN7rocprim17ROCPRIM_400000_NS6detail31init_lookback_scan_state_kernelINS1_19lookback_scan_stateIlLb0ELb1EEENS1_16ordered_block_idIjEEEEvT_jT0_jPNS7_10value_typeE
	.globl	_ZN7rocprim17ROCPRIM_400000_NS6detail31init_lookback_scan_state_kernelINS1_19lookback_scan_stateIlLb0ELb1EEENS1_16ordered_block_idIjEEEEvT_jT0_jPNS7_10value_typeE
	.p2align	8
	.type	_ZN7rocprim17ROCPRIM_400000_NS6detail31init_lookback_scan_state_kernelINS1_19lookback_scan_stateIlLb0ELb1EEENS1_16ordered_block_idIjEEEEvT_jT0_jPNS7_10value_typeE,@function
_ZN7rocprim17ROCPRIM_400000_NS6detail31init_lookback_scan_state_kernelINS1_19lookback_scan_stateIlLb0ELb1EEENS1_16ordered_block_idIjEEEEvT_jT0_jPNS7_10value_typeE: ; @_ZN7rocprim17ROCPRIM_400000_NS6detail31init_lookback_scan_state_kernelINS1_19lookback_scan_stateIlLb0ELb1EEENS1_16ordered_block_idIjEEEEvT_jT0_jPNS7_10value_typeE
; %bb.0:
	s_clause 0x2
	s_load_b32 s7, s[0:1], 0x34
	s_load_b96 s[4:6], s[0:1], 0x0
	s_load_b64 s[2:3], s[0:1], 0x20
	s_bfe_u32 s8, ttmp6, 0x4000c
	s_and_b32 s9, ttmp6, 15
	s_add_co_i32 s8, s8, 1
	s_getreg_b32 s10, hwreg(HW_REG_IB_STS2, 6, 4)
	s_mul_i32 s8, ttmp9, s8
	s_delay_alu instid0(SALU_CYCLE_1)
	s_add_co_i32 s9, s9, s8
	s_wait_kmcnt 0x0
	s_and_b32 s7, s7, 0xffff
	s_cmp_eq_u32 s10, 0
	s_cselect_b32 s8, ttmp9, s9
	s_cmp_eq_u64 s[2:3], 0
	v_mad_u32 v8, s8, s7, v0
	s_cbranch_scc1 .LBB19_8
; %bb.1:
	s_load_b32 s8, s[0:1], 0x18
	s_wait_kmcnt 0x0
	s_cmp_lt_u32 s8, s6
	s_cselect_b32 s7, s8, 0
	s_delay_alu instid0(VALU_DEP_1) | instid1(SALU_CYCLE_1)
	v_cmp_eq_u32_e32 vcc_lo, s7, v8
	s_and_saveexec_b32 s7, vcc_lo
	s_cbranch_execz .LBB19_7
; %bb.2:
	s_add_co_i32 s8, s8, 32
	s_mov_b32 s9, 0
	v_mov_b32_e32 v5, 0
	s_lshl_b64 s[10:11], s[8:9], 4
	s_mov_b32 s8, exec_lo
	s_add_nc_u64 s[10:11], s[4:5], s[10:11]
	s_delay_alu instid0(SALU_CYCLE_1) | instskip(SKIP_2) | instid1(VALU_DEP_1)
	v_mov_b64_e32 v[0:1], s[10:11]
	;;#ASMSTART
	global_load_b128 v[0:3], v[0:1] off scope:SCOPE_DEV	
s_wait_loadcnt 0x0
	;;#ASMEND
	v_and_b32_e32 v4, 0xff, v2
	v_cmpx_eq_u64_e32 0, v[4:5]
	s_cbranch_execz .LBB19_6
; %bb.3:
	v_mov_b64_e32 v[6:7], s[10:11]
.LBB19_4:                               ; =>This Inner Loop Header: Depth=1
	;;#ASMSTART
	global_load_b128 v[0:3], v[6:7] off scope:SCOPE_DEV	
s_wait_loadcnt 0x0
	;;#ASMEND
	v_and_b32_e32 v4, 0xff, v2
	s_delay_alu instid0(VALU_DEP_1) | instskip(SKIP_1) | instid1(SALU_CYCLE_1)
	v_cmp_ne_u64_e32 vcc_lo, 0, v[4:5]
	s_or_b32 s9, vcc_lo, s9
	s_and_not1_b32 exec_lo, exec_lo, s9
	s_cbranch_execnz .LBB19_4
; %bb.5:
	s_or_b32 exec_lo, exec_lo, s9
.LBB19_6:
	s_delay_alu instid0(SALU_CYCLE_1)
	s_or_b32 exec_lo, exec_lo, s8
	v_mov_b32_e32 v2, 0
	global_store_b64 v2, v[0:1], s[2:3]
.LBB19_7:
	s_wait_xcnt 0x0
	s_or_b32 exec_lo, exec_lo, s7
.LBB19_8:
	s_delay_alu instid0(SALU_CYCLE_1) | instskip(NEXT) | instid1(VALU_DEP_1)
	s_mov_b32 s2, exec_lo
	v_cmpx_eq_u32_e32 0, v8
	s_cbranch_execz .LBB19_10
; %bb.9:
	s_load_b64 s[0:1], s[0:1], 0x10
	v_mov_b32_e32 v0, 0
	s_wait_kmcnt 0x0
	global_store_b32 v0, v0, s[0:1]
.LBB19_10:
	s_wait_xcnt 0x0
	s_or_b32 exec_lo, exec_lo, s2
	s_delay_alu instid0(SALU_CYCLE_1)
	s_mov_b32 s0, exec_lo
	v_cmpx_gt_u32_e64 s6, v8
	s_cbranch_execz .LBB19_12
; %bb.11:
	v_dual_mov_b32 v0, 0 :: v_dual_add_nc_u32 v4, 32, v8
	s_delay_alu instid0(VALU_DEP_1)
	v_dual_mov_b32 v1, v0 :: v_dual_mov_b32 v2, v0
	v_mov_b32_e32 v3, v0
	global_store_b128 v4, v[0:3], s[4:5] scale_offset
.LBB19_12:
	s_wait_xcnt 0x0
	s_or_b32 exec_lo, exec_lo, s0
	s_delay_alu instid0(SALU_CYCLE_1)
	s_mov_b32 s0, exec_lo
	v_cmpx_gt_u32_e32 32, v8
	s_cbranch_execz .LBB19_14
; %bb.13:
	v_mov_b32_e32 v0, 0
	s_delay_alu instid0(VALU_DEP_1)
	v_dual_mov_b32 v2, 0xff :: v_dual_mov_b32 v1, v0
	v_mov_b32_e32 v3, v0
	global_store_b128 v8, v[0:3], s[4:5] scale_offset
.LBB19_14:
	s_endpgm
	.section	.rodata,"a",@progbits
	.p2align	6, 0x0
	.amdhsa_kernel _ZN7rocprim17ROCPRIM_400000_NS6detail31init_lookback_scan_state_kernelINS1_19lookback_scan_stateIlLb0ELb1EEENS1_16ordered_block_idIjEEEEvT_jT0_jPNS7_10value_typeE
		.amdhsa_group_segment_fixed_size 0
		.amdhsa_private_segment_fixed_size 0
		.amdhsa_kernarg_size 296
		.amdhsa_user_sgpr_count 2
		.amdhsa_user_sgpr_dispatch_ptr 0
		.amdhsa_user_sgpr_queue_ptr 0
		.amdhsa_user_sgpr_kernarg_segment_ptr 1
		.amdhsa_user_sgpr_dispatch_id 0
		.amdhsa_user_sgpr_kernarg_preload_length 0
		.amdhsa_user_sgpr_kernarg_preload_offset 0
		.amdhsa_user_sgpr_private_segment_size 0
		.amdhsa_wavefront_size32 1
		.amdhsa_uses_dynamic_stack 0
		.amdhsa_enable_private_segment 0
		.amdhsa_system_sgpr_workgroup_id_x 1
		.amdhsa_system_sgpr_workgroup_id_y 0
		.amdhsa_system_sgpr_workgroup_id_z 0
		.amdhsa_system_sgpr_workgroup_info 0
		.amdhsa_system_vgpr_workitem_id 0
		.amdhsa_next_free_vgpr 9
		.amdhsa_next_free_sgpr 12
		.amdhsa_named_barrier_count 0
		.amdhsa_reserve_vcc 1
		.amdhsa_float_round_mode_32 0
		.amdhsa_float_round_mode_16_64 0
		.amdhsa_float_denorm_mode_32 3
		.amdhsa_float_denorm_mode_16_64 3
		.amdhsa_fp16_overflow 0
		.amdhsa_memory_ordered 1
		.amdhsa_forward_progress 1
		.amdhsa_inst_pref_size 4
		.amdhsa_round_robin_scheduling 0
		.amdhsa_exception_fp_ieee_invalid_op 0
		.amdhsa_exception_fp_denorm_src 0
		.amdhsa_exception_fp_ieee_div_zero 0
		.amdhsa_exception_fp_ieee_overflow 0
		.amdhsa_exception_fp_ieee_underflow 0
		.amdhsa_exception_fp_ieee_inexact 0
		.amdhsa_exception_int_div_zero 0
	.end_amdhsa_kernel
	.section	.text._ZN7rocprim17ROCPRIM_400000_NS6detail31init_lookback_scan_state_kernelINS1_19lookback_scan_stateIlLb0ELb1EEENS1_16ordered_block_idIjEEEEvT_jT0_jPNS7_10value_typeE,"axG",@progbits,_ZN7rocprim17ROCPRIM_400000_NS6detail31init_lookback_scan_state_kernelINS1_19lookback_scan_stateIlLb0ELb1EEENS1_16ordered_block_idIjEEEEvT_jT0_jPNS7_10value_typeE,comdat
.Lfunc_end19:
	.size	_ZN7rocprim17ROCPRIM_400000_NS6detail31init_lookback_scan_state_kernelINS1_19lookback_scan_stateIlLb0ELb1EEENS1_16ordered_block_idIjEEEEvT_jT0_jPNS7_10value_typeE, .Lfunc_end19-_ZN7rocprim17ROCPRIM_400000_NS6detail31init_lookback_scan_state_kernelINS1_19lookback_scan_stateIlLb0ELb1EEENS1_16ordered_block_idIjEEEEvT_jT0_jPNS7_10value_typeE
                                        ; -- End function
	.set _ZN7rocprim17ROCPRIM_400000_NS6detail31init_lookback_scan_state_kernelINS1_19lookback_scan_stateIlLb0ELb1EEENS1_16ordered_block_idIjEEEEvT_jT0_jPNS7_10value_typeE.num_vgpr, 9
	.set _ZN7rocprim17ROCPRIM_400000_NS6detail31init_lookback_scan_state_kernelINS1_19lookback_scan_stateIlLb0ELb1EEENS1_16ordered_block_idIjEEEEvT_jT0_jPNS7_10value_typeE.num_agpr, 0
	.set _ZN7rocprim17ROCPRIM_400000_NS6detail31init_lookback_scan_state_kernelINS1_19lookback_scan_stateIlLb0ELb1EEENS1_16ordered_block_idIjEEEEvT_jT0_jPNS7_10value_typeE.numbered_sgpr, 12
	.set _ZN7rocprim17ROCPRIM_400000_NS6detail31init_lookback_scan_state_kernelINS1_19lookback_scan_stateIlLb0ELb1EEENS1_16ordered_block_idIjEEEEvT_jT0_jPNS7_10value_typeE.num_named_barrier, 0
	.set _ZN7rocprim17ROCPRIM_400000_NS6detail31init_lookback_scan_state_kernelINS1_19lookback_scan_stateIlLb0ELb1EEENS1_16ordered_block_idIjEEEEvT_jT0_jPNS7_10value_typeE.private_seg_size, 0
	.set _ZN7rocprim17ROCPRIM_400000_NS6detail31init_lookback_scan_state_kernelINS1_19lookback_scan_stateIlLb0ELb1EEENS1_16ordered_block_idIjEEEEvT_jT0_jPNS7_10value_typeE.uses_vcc, 1
	.set _ZN7rocprim17ROCPRIM_400000_NS6detail31init_lookback_scan_state_kernelINS1_19lookback_scan_stateIlLb0ELb1EEENS1_16ordered_block_idIjEEEEvT_jT0_jPNS7_10value_typeE.uses_flat_scratch, 0
	.set _ZN7rocprim17ROCPRIM_400000_NS6detail31init_lookback_scan_state_kernelINS1_19lookback_scan_stateIlLb0ELb1EEENS1_16ordered_block_idIjEEEEvT_jT0_jPNS7_10value_typeE.has_dyn_sized_stack, 0
	.set _ZN7rocprim17ROCPRIM_400000_NS6detail31init_lookback_scan_state_kernelINS1_19lookback_scan_stateIlLb0ELb1EEENS1_16ordered_block_idIjEEEEvT_jT0_jPNS7_10value_typeE.has_recursion, 0
	.set _ZN7rocprim17ROCPRIM_400000_NS6detail31init_lookback_scan_state_kernelINS1_19lookback_scan_stateIlLb0ELb1EEENS1_16ordered_block_idIjEEEEvT_jT0_jPNS7_10value_typeE.has_indirect_call, 0
	.section	.AMDGPU.csdata,"",@progbits
; Kernel info:
; codeLenInByte = 424
; TotalNumSgprs: 14
; NumVgprs: 9
; ScratchSize: 0
; MemoryBound: 0
; FloatMode: 240
; IeeeMode: 1
; LDSByteSize: 0 bytes/workgroup (compile time only)
; SGPRBlocks: 0
; VGPRBlocks: 0
; NumSGPRsForWavesPerEU: 14
; NumVGPRsForWavesPerEU: 9
; NamedBarCnt: 0
; Occupancy: 16
; WaveLimiterHint : 0
; COMPUTE_PGM_RSRC2:SCRATCH_EN: 0
; COMPUTE_PGM_RSRC2:USER_SGPR: 2
; COMPUTE_PGM_RSRC2:TRAP_HANDLER: 0
; COMPUTE_PGM_RSRC2:TGID_X_EN: 1
; COMPUTE_PGM_RSRC2:TGID_Y_EN: 0
; COMPUTE_PGM_RSRC2:TGID_Z_EN: 0
; COMPUTE_PGM_RSRC2:TIDIG_COMP_CNT: 0
	.section	.text._ZN6thrust23THRUST_200600_302600_NS11hip_rocprim14__parallel_for6kernelILj256EZNS1_16__set_operations9doit_stepILb0ENS0_6detail15normal_iteratorINS0_10device_ptrIKiEEEESB_PiSC_lNS7_INS8_IiEEEESC_NS0_4lessIiEENS4_16serial_set_unionEEE10hipError_tPvRmT0_T1_T2_T3_T4_SP_T5_T6_PSP_T7_T8_P12ihipStream_tbEUllE_jLj1EEEvSL_SM_SM_,"axG",@progbits,_ZN6thrust23THRUST_200600_302600_NS11hip_rocprim14__parallel_for6kernelILj256EZNS1_16__set_operations9doit_stepILb0ENS0_6detail15normal_iteratorINS0_10device_ptrIKiEEEESB_PiSC_lNS7_INS8_IiEEEESC_NS0_4lessIiEENS4_16serial_set_unionEEE10hipError_tPvRmT0_T1_T2_T3_T4_SP_T5_T6_PSP_T7_T8_P12ihipStream_tbEUllE_jLj1EEEvSL_SM_SM_,comdat
	.protected	_ZN6thrust23THRUST_200600_302600_NS11hip_rocprim14__parallel_for6kernelILj256EZNS1_16__set_operations9doit_stepILb0ENS0_6detail15normal_iteratorINS0_10device_ptrIKiEEEESB_PiSC_lNS7_INS8_IiEEEESC_NS0_4lessIiEENS4_16serial_set_unionEEE10hipError_tPvRmT0_T1_T2_T3_T4_SP_T5_T6_PSP_T7_T8_P12ihipStream_tbEUllE_jLj1EEEvSL_SM_SM_ ; -- Begin function _ZN6thrust23THRUST_200600_302600_NS11hip_rocprim14__parallel_for6kernelILj256EZNS1_16__set_operations9doit_stepILb0ENS0_6detail15normal_iteratorINS0_10device_ptrIKiEEEESB_PiSC_lNS7_INS8_IiEEEESC_NS0_4lessIiEENS4_16serial_set_unionEEE10hipError_tPvRmT0_T1_T2_T3_T4_SP_T5_T6_PSP_T7_T8_P12ihipStream_tbEUllE_jLj1EEEvSL_SM_SM_
	.globl	_ZN6thrust23THRUST_200600_302600_NS11hip_rocprim14__parallel_for6kernelILj256EZNS1_16__set_operations9doit_stepILb0ENS0_6detail15normal_iteratorINS0_10device_ptrIKiEEEESB_PiSC_lNS7_INS8_IiEEEESC_NS0_4lessIiEENS4_16serial_set_unionEEE10hipError_tPvRmT0_T1_T2_T3_T4_SP_T5_T6_PSP_T7_T8_P12ihipStream_tbEUllE_jLj1EEEvSL_SM_SM_
	.p2align	8
	.type	_ZN6thrust23THRUST_200600_302600_NS11hip_rocprim14__parallel_for6kernelILj256EZNS1_16__set_operations9doit_stepILb0ENS0_6detail15normal_iteratorINS0_10device_ptrIKiEEEESB_PiSC_lNS7_INS8_IiEEEESC_NS0_4lessIiEENS4_16serial_set_unionEEE10hipError_tPvRmT0_T1_T2_T3_T4_SP_T5_T6_PSP_T7_T8_P12ihipStream_tbEUllE_jLj1EEEvSL_SM_SM_,@function
_ZN6thrust23THRUST_200600_302600_NS11hip_rocprim14__parallel_for6kernelILj256EZNS1_16__set_operations9doit_stepILb0ENS0_6detail15normal_iteratorINS0_10device_ptrIKiEEEESB_PiSC_lNS7_INS8_IiEEEESC_NS0_4lessIiEENS4_16serial_set_unionEEE10hipError_tPvRmT0_T1_T2_T3_T4_SP_T5_T6_PSP_T7_T8_P12ihipStream_tbEUllE_jLj1EEEvSL_SM_SM_: ; @_ZN6thrust23THRUST_200600_302600_NS11hip_rocprim14__parallel_for6kernelILj256EZNS1_16__set_operations9doit_stepILb0ENS0_6detail15normal_iteratorINS0_10device_ptrIKiEEEESB_PiSC_lNS7_INS8_IiEEEESC_NS0_4lessIiEENS4_16serial_set_unionEEE10hipError_tPvRmT0_T1_T2_T3_T4_SP_T5_T6_PSP_T7_T8_P12ihipStream_tbEUllE_jLj1EEEvSL_SM_SM_
; %bb.0:
	s_clause 0x2
	s_load_b64 s[12:13], s[0:1], 0x30
	s_load_b64 s[2:3], s[0:1], 0x20
	s_load_b256 s[4:11], s[0:1], 0x0
	s_wait_xcnt 0x0
	s_bfe_u32 s0, ttmp6, 0x4000c
	s_and_b32 s1, ttmp6, 15
	s_add_co_i32 s0, s0, 1
	s_getreg_b32 s14, hwreg(HW_REG_IB_STS2, 6, 4)
	s_mul_i32 s0, ttmp9, s0
	s_delay_alu instid0(SALU_CYCLE_1) | instskip(SKIP_2) | instid1(SALU_CYCLE_1)
	s_add_co_i32 s1, s1, s0
	s_cmp_eq_u32 s14, 0
	s_cselect_b32 s0, ttmp9, s1
	s_lshl_b32 s0, s0, 8
	s_wait_kmcnt 0x0
	s_add_co_i32 s1, s13, s0
	s_mov_b32 s0, -1
	s_sub_co_i32 s12, s12, s1
	s_delay_alu instid0(SALU_CYCLE_1)
	s_cmp_gt_u32 s12, 0xff
	s_cbranch_scc0 .LBB20_3
; %bb.1:
	s_and_not1_b32 vcc_lo, exec_lo, s0
	s_cbranch_vccz .LBB20_40
.LBB20_2:
	s_endpgm
.LBB20_3:
	v_cmp_gt_u32_e32 vcc_lo, s12, v0
	s_and_saveexec_b32 s12, vcc_lo
	s_cbranch_execz .LBB20_39
; %bb.4:
	v_dual_mov_b32 v7, 0 :: v_dual_add_nc_u32 v6, s1, v0
	s_add_nc_u64 s[14:15], s[6:7], s[4:5]
	s_mov_b32 s0, exec_lo
	s_delay_alu instid0(VALU_DEP_1) | instskip(NEXT) | instid1(VALU_DEP_1)
	v_mul_u64_e32 v[2:3], 0xfff, v[6:7]
	v_min_i64 v[4:5], s[14:15], v[2:3]
	s_delay_alu instid0(VALU_DEP_1) | instskip(SKIP_1) | instid1(VALU_DEP_2)
	v_sub_nc_u64_e64 v[2:3], v[4:5], s[6:7]
	v_min_i64 v[8:9], s[4:5], v[4:5]
	v_max_i64 v[2:3], v[2:3], 0
	s_delay_alu instid0(VALU_DEP_1)
	v_cmpx_lt_i64_e64 v[2:3], v[8:9]
	s_cbranch_execz .LBB20_8
; %bb.5:
	v_lshl_add_u64 v[10:11], v[4:5], 2, s[2:3]
	s_mov_b32 s13, 0
.LBB20_6:                               ; =>This Inner Loop Header: Depth=1
	v_add_nc_u64_e32 v[12:13], v[8:9], v[2:3]
	s_delay_alu instid0(VALU_DEP_1) | instskip(NEXT) | instid1(VALU_DEP_1)
	v_lshrrev_b64 v[12:13], 1, v[12:13]
	v_lshlrev_b64_e32 v[14:15], 2, v[12:13]
	s_delay_alu instid0(VALU_DEP_1) | instskip(NEXT) | instid1(VALU_DEP_2)
	v_xor_b32_e32 v17, -1, v15
	v_xor_b32_e32 v16, -4, v14
	v_add_nc_u64_e32 v[14:15], s[10:11], v[14:15]
	s_delay_alu instid0(VALU_DEP_2)
	v_add_nc_u64_e32 v[16:17], v[10:11], v[16:17]
	global_load_b32 v1, v[14:15], off
	global_load_b32 v18, v[16:17], off
	s_wait_xcnt 0x1
	v_add_nc_u64_e32 v[14:15], 1, v[12:13]
	s_wait_loadcnt 0x0
	v_cmp_lt_i32_e32 vcc_lo, v18, v1
	v_dual_cndmask_b32 v9, v9, v13 :: v_dual_cndmask_b32 v8, v8, v12
	s_delay_alu instid0(VALU_DEP_3) | instskip(NEXT) | instid1(VALU_DEP_1)
	v_dual_cndmask_b32 v3, v15, v3 :: v_dual_cndmask_b32 v2, v14, v2
	v_cmp_ge_i64_e32 vcc_lo, v[2:3], v[8:9]
	s_or_b32 s13, vcc_lo, s13
	s_delay_alu instid0(SALU_CYCLE_1)
	s_and_not1_b32 exec_lo, exec_lo, s13
	s_cbranch_execnz .LBB20_6
; %bb.7:
	s_or_b32 exec_lo, exec_lo, s13
.LBB20_8:
	s_delay_alu instid0(SALU_CYCLE_1) | instskip(SKIP_3) | instid1(VALU_DEP_2)
	s_or_b32 exec_lo, exec_lo, s0
	v_sub_nc_u64_e32 v[12:13], v[4:5], v[2:3]
	v_mov_b64_e32 v[8:9], 0
	s_mov_b32 s13, exec_lo
	v_cmpx_gt_i64_e64 s[6:7], v[12:13]
	s_cbranch_execz .LBB20_38
; %bb.9:
	v_lshl_add_u64 v[10:11], v[12:13], 2, s[2:3]
	v_mov_b64_e32 v[8:9], 0
	v_mov_b64_e32 v[14:15], 0
	s_mov_b32 s0, exec_lo
	global_load_b32 v1, v[10:11], off
	s_wait_xcnt 0x0
	v_cmpx_lt_i64_e32 0, v[2:3]
	s_cbranch_execnz .LBB20_14
; %bb.10:
	s_or_b32 exec_lo, exec_lo, s0
	s_delay_alu instid0(SALU_CYCLE_1)
	s_mov_b32 s0, exec_lo
	v_cmpx_lt_u64_e64 v[8:9], v[14:15]
	s_cbranch_execnz .LBB20_15
.LBB20_11:
	s_or_b32 exec_lo, exec_lo, s0
	s_delay_alu instid0(SALU_CYCLE_1)
	s_mov_b32 s0, exec_lo
	v_cmpx_lt_u64_e64 v[8:9], v[14:15]
	s_cbranch_execnz .LBB20_16
.LBB20_12:
	s_or_b32 exec_lo, exec_lo, s0
	s_delay_alu instid0(SALU_CYCLE_1)
	s_mov_b32 s0, exec_lo
	v_cmpx_lt_u64_e64 v[8:9], v[14:15]
	s_cbranch_execnz .LBB20_17
.LBB20_13:
	s_or_b32 exec_lo, exec_lo, s0
	s_delay_alu instid0(SALU_CYCLE_1)
	s_mov_b32 s0, exec_lo
	v_cmpx_lt_u64_e64 v[8:9], v[14:15]
	s_cbranch_execnz .LBB20_18
	s_branch .LBB20_21
.LBB20_14:
	v_mul_u64_e32 v[8:9], 0x1ff, v[2:3]
	s_delay_alu instid0(VALU_DEP_1) | instskip(NEXT) | instid1(VALU_DEP_1)
	v_lshrrev_b64 v[14:15], 9, v[8:9]
	v_lshl_add_u64 v[8:9], v[14:15], 2, s[10:11]
	global_load_b32 v16, v[8:9], off
	s_wait_xcnt 0x0
	v_add_nc_u64_e32 v[8:9], 1, v[14:15]
	s_wait_loadcnt 0x0
	v_cmp_lt_i32_e32 vcc_lo, v16, v1
	s_delay_alu instid0(VALU_DEP_2) | instskip(SKIP_2) | instid1(SALU_CYCLE_1)
	v_dual_cndmask_b32 v9, 0, v9 :: v_dual_cndmask_b32 v8, 0, v8
	v_dual_cndmask_b32 v15, v15, v3 :: v_dual_cndmask_b32 v14, v14, v2
	s_or_b32 exec_lo, exec_lo, s0
	s_mov_b32 s0, exec_lo
	s_delay_alu instid0(VALU_DEP_1)
	v_cmpx_lt_u64_e64 v[8:9], v[14:15]
	s_cbranch_execz .LBB20_11
.LBB20_15:
	v_mad_nc_u64_u32 v[16:17], 0x7f, v14, v[8:9]
	s_delay_alu instid0(VALU_DEP_1) | instskip(NEXT) | instid1(VALU_DEP_1)
	v_mad_u32 v17, 0x7f, v15, v17
	v_lshrrev_b64 v[16:17], 7, v[16:17]
	s_delay_alu instid0(VALU_DEP_1)
	v_lshl_add_u64 v[18:19], v[16:17], 2, s[10:11]
	global_load_b32 v20, v[18:19], off
	s_wait_xcnt 0x0
	v_add_nc_u64_e32 v[18:19], 1, v[16:17]
	s_wait_loadcnt 0x0
	v_cmp_lt_i32_e32 vcc_lo, v20, v1
	s_delay_alu instid0(VALU_DEP_2) | instskip(SKIP_2) | instid1(SALU_CYCLE_1)
	v_dual_cndmask_b32 v9, v9, v19 :: v_dual_cndmask_b32 v8, v8, v18
	v_dual_cndmask_b32 v15, v17, v15 :: v_dual_cndmask_b32 v14, v16, v14
	s_or_b32 exec_lo, exec_lo, s0
	s_mov_b32 s0, exec_lo
	s_delay_alu instid0(VALU_DEP_1)
	v_cmpx_lt_u64_e64 v[8:9], v[14:15]
	s_cbranch_execz .LBB20_12
.LBB20_16:
	v_mad_nc_u64_u32 v[16:17], v14, 31, v[8:9]
	s_delay_alu instid0(VALU_DEP_1) | instskip(NEXT) | instid1(VALU_DEP_1)
	v_mad_u32 v17, v15, 31, v17
	v_lshrrev_b64 v[16:17], 5, v[16:17]
	s_delay_alu instid0(VALU_DEP_1)
	v_lshl_add_u64 v[18:19], v[16:17], 2, s[10:11]
	global_load_b32 v20, v[18:19], off
	s_wait_xcnt 0x0
	v_add_nc_u64_e32 v[18:19], 1, v[16:17]
	s_wait_loadcnt 0x0
	v_cmp_lt_i32_e32 vcc_lo, v20, v1
	s_delay_alu instid0(VALU_DEP_2) | instskip(SKIP_2) | instid1(SALU_CYCLE_1)
	v_dual_cndmask_b32 v9, v9, v19 :: v_dual_cndmask_b32 v8, v8, v18
	v_dual_cndmask_b32 v15, v17, v15 :: v_dual_cndmask_b32 v14, v16, v14
	s_or_b32 exec_lo, exec_lo, s0
	s_mov_b32 s0, exec_lo
	s_delay_alu instid0(VALU_DEP_1)
	v_cmpx_lt_u64_e64 v[8:9], v[14:15]
	s_cbranch_execz .LBB20_13
.LBB20_17:
	v_mad_nc_u64_u32 v[16:17], v14, 15, v[8:9]
	s_delay_alu instid0(VALU_DEP_1) | instskip(NEXT) | instid1(VALU_DEP_1)
	v_mad_u32 v17, v15, 15, v17
	v_lshrrev_b64 v[16:17], 4, v[16:17]
	s_delay_alu instid0(VALU_DEP_1)
	v_lshl_add_u64 v[18:19], v[16:17], 2, s[10:11]
	global_load_b32 v20, v[18:19], off
	s_wait_xcnt 0x0
	v_add_nc_u64_e32 v[18:19], 1, v[16:17]
	s_wait_loadcnt 0x0
	v_cmp_lt_i32_e32 vcc_lo, v20, v1
	s_delay_alu instid0(VALU_DEP_2) | instskip(SKIP_2) | instid1(SALU_CYCLE_1)
	v_dual_cndmask_b32 v9, v9, v19 :: v_dual_cndmask_b32 v8, v8, v18
	v_dual_cndmask_b32 v15, v17, v15 :: v_dual_cndmask_b32 v14, v16, v14
	s_or_b32 exec_lo, exec_lo, s0
	s_mov_b32 s0, exec_lo
	s_delay_alu instid0(VALU_DEP_1)
	v_cmpx_lt_u64_e64 v[8:9], v[14:15]
	s_cbranch_execz .LBB20_21
.LBB20_18:
	s_mov_b32 s14, 0
.LBB20_19:                              ; =>This Inner Loop Header: Depth=1
	v_add_nc_u64_e32 v[16:17], v[8:9], v[14:15]
	s_delay_alu instid0(VALU_DEP_1) | instskip(NEXT) | instid1(VALU_DEP_1)
	v_lshrrev_b64 v[16:17], 1, v[16:17]
	v_lshl_add_u64 v[18:19], v[16:17], 2, s[10:11]
	global_load_b32 v20, v[18:19], off
	s_wait_xcnt 0x0
	v_add_nc_u64_e32 v[18:19], 1, v[16:17]
	s_wait_loadcnt 0x0
	v_cmp_lt_i32_e32 vcc_lo, v20, v1
	s_delay_alu instid0(VALU_DEP_2) | instskip(SKIP_1) | instid1(VALU_DEP_1)
	v_dual_cndmask_b32 v9, v9, v19 :: v_dual_cndmask_b32 v8, v8, v18
	v_dual_cndmask_b32 v15, v17, v15 :: v_dual_cndmask_b32 v14, v16, v14
	v_cmp_ge_i64_e32 vcc_lo, v[8:9], v[14:15]
	s_or_b32 s14, vcc_lo, s14
	s_delay_alu instid0(SALU_CYCLE_1)
	s_and_not1_b32 exec_lo, exec_lo, s14
	s_cbranch_execnz .LBB20_19
; %bb.20:
	s_or_b32 exec_lo, exec_lo, s14
.LBB20_21:
	s_delay_alu instid0(SALU_CYCLE_1)
	s_or_b32 exec_lo, exec_lo, s0
	v_mov_b64_e32 v[14:15], 0
	v_mov_b64_e32 v[16:17], v[12:13]
	s_mov_b32 s0, exec_lo
	v_cmpx_lt_i64_e32 0, v[12:13]
	s_cbranch_execnz .LBB20_26
; %bb.22:
	s_or_b32 exec_lo, exec_lo, s0
	s_delay_alu instid0(SALU_CYCLE_1) | instskip(NEXT) | instid1(VALU_DEP_2)
	s_mov_b32 s0, exec_lo
	v_cmpx_lt_i64_e64 v[14:15], v[16:17]
	s_cbranch_execnz .LBB20_27
.LBB20_23:
	s_or_b32 exec_lo, exec_lo, s0
	s_delay_alu instid0(SALU_CYCLE_1)
	s_mov_b32 s0, exec_lo
	v_cmpx_lt_i64_e64 v[14:15], v[16:17]
	s_cbranch_execnz .LBB20_28
.LBB20_24:
	s_or_b32 exec_lo, exec_lo, s0
	s_delay_alu instid0(SALU_CYCLE_1)
	s_mov_b32 s0, exec_lo
	v_cmpx_lt_i64_e64 v[14:15], v[16:17]
	s_cbranch_execnz .LBB20_29
.LBB20_25:
	s_or_b32 exec_lo, exec_lo, s0
	s_delay_alu instid0(SALU_CYCLE_1)
	s_mov_b32 s0, exec_lo
	v_cmpx_lt_i64_e64 v[14:15], v[16:17]
	s_cbranch_execnz .LBB20_30
	s_branch .LBB20_33
.LBB20_26:
	v_mul_u64_e32 v[14:15], 0x1ff, v[12:13]
	s_delay_alu instid0(VALU_DEP_1) | instskip(NEXT) | instid1(VALU_DEP_1)
	v_lshrrev_b64 v[16:17], 9, v[14:15]
	v_lshl_add_u64 v[14:15], v[16:17], 2, s[2:3]
	global_load_b32 v18, v[14:15], off
	s_wait_xcnt 0x0
	v_add_nc_u64_e32 v[14:15], 1, v[16:17]
	s_wait_loadcnt 0x0
	v_cmp_lt_i32_e32 vcc_lo, v18, v1
	s_delay_alu instid0(VALU_DEP_2) | instskip(SKIP_2) | instid1(SALU_CYCLE_1)
	v_dual_cndmask_b32 v15, 0, v15 :: v_dual_cndmask_b32 v14, 0, v14
	v_dual_cndmask_b32 v17, v17, v13 :: v_dual_cndmask_b32 v16, v16, v12
	s_or_b32 exec_lo, exec_lo, s0
	s_mov_b32 s0, exec_lo
	s_delay_alu instid0(VALU_DEP_1)
	v_cmpx_lt_i64_e64 v[14:15], v[16:17]
	s_cbranch_execz .LBB20_23
.LBB20_27:
	v_mad_nc_u64_u32 v[18:19], 0x7f, v16, v[14:15]
	s_delay_alu instid0(VALU_DEP_1) | instskip(NEXT) | instid1(VALU_DEP_1)
	v_mad_u32 v19, 0x7f, v17, v19
	v_lshrrev_b64 v[18:19], 7, v[18:19]
	s_delay_alu instid0(VALU_DEP_1)
	v_lshl_add_u64 v[20:21], v[18:19], 2, s[2:3]
	global_load_b32 v22, v[20:21], off
	s_wait_xcnt 0x0
	v_add_nc_u64_e32 v[20:21], 1, v[18:19]
	s_wait_loadcnt 0x0
	v_cmp_lt_i32_e32 vcc_lo, v22, v1
	s_delay_alu instid0(VALU_DEP_2) | instskip(SKIP_2) | instid1(SALU_CYCLE_1)
	v_dual_cndmask_b32 v15, v15, v21 :: v_dual_cndmask_b32 v14, v14, v20
	v_dual_cndmask_b32 v17, v19, v17 :: v_dual_cndmask_b32 v16, v18, v16
	s_or_b32 exec_lo, exec_lo, s0
	s_mov_b32 s0, exec_lo
	s_delay_alu instid0(VALU_DEP_1)
	v_cmpx_lt_i64_e64 v[14:15], v[16:17]
	s_cbranch_execz .LBB20_24
.LBB20_28:
	v_mad_nc_u64_u32 v[18:19], v16, 31, v[14:15]
	s_delay_alu instid0(VALU_DEP_1) | instskip(NEXT) | instid1(VALU_DEP_1)
	v_mad_u32 v19, v17, 31, v19
	v_lshrrev_b64 v[18:19], 5, v[18:19]
	s_delay_alu instid0(VALU_DEP_1)
	v_lshl_add_u64 v[20:21], v[18:19], 2, s[2:3]
	global_load_b32 v22, v[20:21], off
	s_wait_xcnt 0x0
	v_add_nc_u64_e32 v[20:21], 1, v[18:19]
	s_wait_loadcnt 0x0
	v_cmp_lt_i32_e32 vcc_lo, v22, v1
	s_delay_alu instid0(VALU_DEP_2) | instskip(SKIP_2) | instid1(SALU_CYCLE_1)
	v_dual_cndmask_b32 v15, v15, v21 :: v_dual_cndmask_b32 v14, v14, v20
	v_dual_cndmask_b32 v17, v19, v17 :: v_dual_cndmask_b32 v16, v18, v16
	s_or_b32 exec_lo, exec_lo, s0
	s_mov_b32 s0, exec_lo
	s_delay_alu instid0(VALU_DEP_1)
	v_cmpx_lt_i64_e64 v[14:15], v[16:17]
	s_cbranch_execz .LBB20_25
.LBB20_29:
	v_mad_nc_u64_u32 v[18:19], v16, 15, v[14:15]
	s_delay_alu instid0(VALU_DEP_1) | instskip(NEXT) | instid1(VALU_DEP_1)
	v_mad_u32 v19, v17, 15, v19
	v_lshrrev_b64 v[18:19], 4, v[18:19]
	s_delay_alu instid0(VALU_DEP_1)
	v_lshl_add_u64 v[20:21], v[18:19], 2, s[2:3]
	global_load_b32 v22, v[20:21], off
	s_wait_xcnt 0x0
	v_add_nc_u64_e32 v[20:21], 1, v[18:19]
	s_wait_loadcnt 0x0
	v_cmp_lt_i32_e32 vcc_lo, v22, v1
	s_delay_alu instid0(VALU_DEP_2) | instskip(SKIP_2) | instid1(SALU_CYCLE_1)
	v_dual_cndmask_b32 v15, v15, v21 :: v_dual_cndmask_b32 v14, v14, v20
	v_dual_cndmask_b32 v17, v19, v17 :: v_dual_cndmask_b32 v16, v18, v16
	s_or_b32 exec_lo, exec_lo, s0
	s_mov_b32 s0, exec_lo
	s_delay_alu instid0(VALU_DEP_1)
	v_cmpx_lt_i64_e64 v[14:15], v[16:17]
	s_cbranch_execz .LBB20_33
.LBB20_30:
	s_mov_b32 s14, 0
.LBB20_31:                              ; =>This Inner Loop Header: Depth=1
	v_add_nc_u64_e32 v[18:19], v[14:15], v[16:17]
	s_delay_alu instid0(VALU_DEP_1) | instskip(NEXT) | instid1(VALU_DEP_1)
	v_lshrrev_b64 v[18:19], 1, v[18:19]
	v_lshl_add_u64 v[20:21], v[18:19], 2, s[2:3]
	global_load_b32 v22, v[20:21], off
	s_wait_xcnt 0x0
	v_add_nc_u64_e32 v[20:21], 1, v[18:19]
	s_wait_loadcnt 0x0
	v_cmp_lt_i32_e32 vcc_lo, v22, v1
	s_delay_alu instid0(VALU_DEP_2) | instskip(SKIP_1) | instid1(VALU_DEP_1)
	v_dual_cndmask_b32 v15, v15, v21 :: v_dual_cndmask_b32 v14, v14, v20
	v_dual_cndmask_b32 v17, v19, v17 :: v_dual_cndmask_b32 v16, v18, v16
	v_cmp_ge_i64_e32 vcc_lo, v[14:15], v[16:17]
	s_or_b32 s14, vcc_lo, s14
	s_delay_alu instid0(SALU_CYCLE_1)
	s_and_not1_b32 exec_lo, exec_lo, s14
	s_cbranch_execnz .LBB20_31
; %bb.32:
	s_or_b32 exec_lo, exec_lo, s14
.LBB20_33:
	s_delay_alu instid0(SALU_CYCLE_1) | instskip(SKIP_3) | instid1(VALU_DEP_1)
	s_or_b32 exec_lo, exec_lo, s0
	v_sub_nc_u64_e32 v[2:3], v[2:3], v[8:9]
	v_sub_nc_u64_e32 v[18:19], v[12:13], v[14:15]
	s_mov_b32 s0, exec_lo
	v_add_nc_u64_e32 v[16:17], v[18:19], v[2:3]
	s_delay_alu instid0(VALU_DEP_1) | instskip(NEXT) | instid1(VALU_DEP_1)
	v_ashrrev_i64 v[2:3], 1, v[16:17]
	v_max_i64 v[2:3], v[2:3], v[18:19]
	s_delay_alu instid0(VALU_DEP_1) | instskip(NEXT) | instid1(VALU_DEP_1)
	v_add_nc_u64_e32 v[14:15], v[14:15], v[2:3]
	v_add_nc_u64_e32 v[14:15], 1, v[14:15]
	s_delay_alu instid0(VALU_DEP_1) | instskip(NEXT) | instid1(VALU_DEP_1)
	v_min_i64 v[14:15], v[14:15], s[6:7]
	v_sub_nc_u64_e32 v[14:15], v[14:15], v[12:13]
	v_mov_b64_e32 v[12:13], 0
	s_delay_alu instid0(VALU_DEP_2)
	v_cmpx_lt_i64_e32 0, v[14:15]
	s_cbranch_execz .LBB20_37
; %bb.34:
	v_mov_b64_e32 v[12:13], 0
	s_mov_b32 s14, 0
.LBB20_35:                              ; =>This Inner Loop Header: Depth=1
	s_delay_alu instid0(VALU_DEP_1) | instskip(NEXT) | instid1(VALU_DEP_1)
	v_add_nc_u64_e32 v[20:21], v[12:13], v[14:15]
	v_lshrrev_b64 v[20:21], 1, v[20:21]
	s_delay_alu instid0(VALU_DEP_1)
	v_lshl_add_u64 v[22:23], v[20:21], 2, v[10:11]
	global_load_b32 v24, v[22:23], off
	s_wait_xcnt 0x0
	v_add_nc_u64_e32 v[22:23], 1, v[20:21]
	s_wait_loadcnt 0x0
	v_cmp_lt_i32_e32 vcc_lo, v1, v24
	s_delay_alu instid0(VALU_DEP_2) | instskip(SKIP_1) | instid1(VALU_DEP_1)
	v_dual_cndmask_b32 v13, v23, v13 :: v_dual_cndmask_b32 v12, v22, v12
	v_dual_cndmask_b32 v15, v15, v21 :: v_dual_cndmask_b32 v14, v14, v20
	v_cmp_ge_i64_e32 vcc_lo, v[12:13], v[14:15]
	s_or_b32 s14, vcc_lo, s14
	s_delay_alu instid0(SALU_CYCLE_1)
	s_and_not1_b32 exec_lo, exec_lo, s14
	s_cbranch_execnz .LBB20_35
; %bb.36:
	s_or_b32 exec_lo, exec_lo, s14
	v_ashrrev_i32_e32 v13, 31, v12
.LBB20_37:
	s_or_b32 exec_lo, exec_lo, s0
	s_delay_alu instid0(VALU_DEP_1) | instskip(SKIP_1) | instid1(VALU_DEP_1)
	v_add_nc_u64_e32 v[10:11], v[12:13], v[18:19]
	s_mov_b32 s14, 0
	v_min_i64 v[12:13], v[10:11], v[2:3]
	v_cmp_lt_i64_e32 vcc_lo, v[2:3], v[10:11]
	s_delay_alu instid0(VALU_DEP_2) | instskip(SKIP_1) | instid1(VALU_DEP_2)
	v_sub_nc_u64_e32 v[14:15], v[16:17], v[12:13]
	v_add_nc_u64_e32 v[12:13], 1, v[12:13]
	v_add_nc_u64_e32 v[2:3], v[14:15], v[8:9]
	s_delay_alu instid0(VALU_DEP_2) | instskip(SKIP_2) | instid1(SALU_CYCLE_1)
	v_cmp_eq_u64_e64 s0, v[14:15], v[12:13]
	v_mov_b32_e32 v9, s14
	s_and_b32 s0, s0, vcc_lo
	v_cndmask_b32_e64 v8, 0, 1, s0
.LBB20_38:
	s_or_b32 exec_lo, exec_lo, s13
	s_delay_alu instid0(VALU_DEP_1) | instskip(SKIP_1) | instid1(VALU_DEP_2)
	v_add_nc_u64_e32 v[4:5], v[8:9], v[4:5]
	v_lshl_add_u64 v[6:7], v[6:7], 4, s[8:9]
	v_sub_nc_u64_e32 v[4:5], v[4:5], v[2:3]
	global_store_b128 v[6:7], v[2:5], off
.LBB20_39:
	s_wait_xcnt 0x0
	s_or_b32 exec_lo, exec_lo, s12
	s_cbranch_execnz .LBB20_2
.LBB20_40:
	v_dual_mov_b32 v5, 0 :: v_dual_add_nc_u32 v4, s1, v0
	s_add_nc_u64 s[0:1], s[6:7], s[4:5]
	s_wait_loadcnt 0x0
	s_delay_alu instid0(VALU_DEP_1) | instskip(NEXT) | instid1(VALU_DEP_1)
	v_mul_u64_e32 v[0:1], 0xfff, v[4:5]
	v_min_i64 v[2:3], s[0:1], v[0:1]
	s_mov_b32 s0, exec_lo
	s_delay_alu instid0(VALU_DEP_1) | instskip(SKIP_1) | instid1(VALU_DEP_2)
	v_sub_nc_u64_e64 v[0:1], v[2:3], s[6:7]
	v_min_i64 v[6:7], s[4:5], v[2:3]
	v_max_i64 v[0:1], v[0:1], 0
	s_delay_alu instid0(VALU_DEP_1)
	v_cmpx_lt_i64_e64 v[0:1], v[6:7]
	s_cbranch_execz .LBB20_44
; %bb.41:
	v_lshl_add_u64 v[8:9], v[2:3], 2, s[2:3]
	s_mov_b32 s1, 0
.LBB20_42:                              ; =>This Inner Loop Header: Depth=1
	v_add_nc_u64_e32 v[10:11], v[6:7], v[0:1]
	s_delay_alu instid0(VALU_DEP_1) | instskip(NEXT) | instid1(VALU_DEP_1)
	v_lshrrev_b64 v[10:11], 1, v[10:11]
	v_lshlrev_b64_e32 v[12:13], 2, v[10:11]
	s_delay_alu instid0(VALU_DEP_1) | instskip(NEXT) | instid1(VALU_DEP_2)
	v_xor_b32_e32 v15, -1, v13
	v_xor_b32_e32 v14, -4, v12
	v_add_nc_u64_e32 v[12:13], s[10:11], v[12:13]
	s_delay_alu instid0(VALU_DEP_2)
	v_add_nc_u64_e32 v[14:15], v[8:9], v[14:15]
	global_load_b32 v16, v[12:13], off
	global_load_b32 v17, v[14:15], off
	s_wait_xcnt 0x1
	v_add_nc_u64_e32 v[12:13], 1, v[10:11]
	s_wait_loadcnt 0x0
	v_cmp_lt_i32_e32 vcc_lo, v17, v16
	v_dual_cndmask_b32 v7, v7, v11 :: v_dual_cndmask_b32 v6, v6, v10
	s_delay_alu instid0(VALU_DEP_3) | instskip(NEXT) | instid1(VALU_DEP_1)
	v_dual_cndmask_b32 v1, v13, v1 :: v_dual_cndmask_b32 v0, v12, v0
	v_cmp_ge_i64_e32 vcc_lo, v[0:1], v[6:7]
	s_or_b32 s1, vcc_lo, s1
	s_wait_xcnt 0x0
	s_and_not1_b32 exec_lo, exec_lo, s1
	s_cbranch_execnz .LBB20_42
; %bb.43:
	s_or_b32 exec_lo, exec_lo, s1
.LBB20_44:
	s_delay_alu instid0(SALU_CYCLE_1) | instskip(SKIP_3) | instid1(VALU_DEP_2)
	s_or_b32 exec_lo, exec_lo, s0
	v_sub_nc_u64_e32 v[10:11], v[2:3], v[0:1]
	v_mov_b64_e32 v[6:7], 0
	s_mov_b32 s1, exec_lo
	v_cmpx_gt_i64_e64 s[6:7], v[10:11]
	s_cbranch_execz .LBB20_74
; %bb.45:
	v_lshl_add_u64 v[8:9], v[10:11], 2, s[2:3]
	v_mov_b64_e32 v[6:7], 0
	v_mov_b64_e32 v[12:13], 0
	s_mov_b32 s0, exec_lo
	global_load_b32 v18, v[8:9], off
	s_wait_xcnt 0x0
	v_cmpx_lt_i64_e32 0, v[0:1]
	s_cbranch_execnz .LBB20_50
; %bb.46:
	s_or_b32 exec_lo, exec_lo, s0
	s_delay_alu instid0(SALU_CYCLE_1)
	s_mov_b32 s0, exec_lo
	v_cmpx_lt_u64_e64 v[6:7], v[12:13]
	s_cbranch_execnz .LBB20_51
.LBB20_47:
	s_or_b32 exec_lo, exec_lo, s0
	s_delay_alu instid0(SALU_CYCLE_1)
	s_mov_b32 s0, exec_lo
	v_cmpx_lt_u64_e64 v[6:7], v[12:13]
	s_cbranch_execnz .LBB20_52
.LBB20_48:
	s_or_b32 exec_lo, exec_lo, s0
	s_delay_alu instid0(SALU_CYCLE_1)
	s_mov_b32 s0, exec_lo
	v_cmpx_lt_u64_e64 v[6:7], v[12:13]
	s_cbranch_execnz .LBB20_53
.LBB20_49:
	s_or_b32 exec_lo, exec_lo, s0
	s_delay_alu instid0(SALU_CYCLE_1)
	s_mov_b32 s0, exec_lo
	v_cmpx_lt_u64_e64 v[6:7], v[12:13]
	s_cbranch_execnz .LBB20_54
	s_branch .LBB20_57
.LBB20_50:
	v_mul_u64_e32 v[6:7], 0x1ff, v[0:1]
	s_delay_alu instid0(VALU_DEP_1) | instskip(NEXT) | instid1(VALU_DEP_1)
	v_lshrrev_b64 v[12:13], 9, v[6:7]
	v_lshl_add_u64 v[6:7], v[12:13], 2, s[10:11]
	global_load_b32 v14, v[6:7], off
	s_wait_xcnt 0x0
	v_add_nc_u64_e32 v[6:7], 1, v[12:13]
	s_wait_loadcnt 0x0
	v_cmp_lt_i32_e32 vcc_lo, v14, v18
	s_delay_alu instid0(VALU_DEP_2) | instskip(SKIP_2) | instid1(SALU_CYCLE_1)
	v_dual_cndmask_b32 v7, 0, v7 :: v_dual_cndmask_b32 v6, 0, v6
	v_dual_cndmask_b32 v13, v13, v1 :: v_dual_cndmask_b32 v12, v12, v0
	s_or_b32 exec_lo, exec_lo, s0
	s_mov_b32 s0, exec_lo
	s_delay_alu instid0(VALU_DEP_1)
	v_cmpx_lt_u64_e64 v[6:7], v[12:13]
	s_cbranch_execz .LBB20_47
.LBB20_51:
	v_mad_nc_u64_u32 v[14:15], 0x7f, v12, v[6:7]
	s_delay_alu instid0(VALU_DEP_1) | instskip(NEXT) | instid1(VALU_DEP_1)
	v_mad_u32 v15, 0x7f, v13, v15
	v_lshrrev_b64 v[14:15], 7, v[14:15]
	s_delay_alu instid0(VALU_DEP_1)
	v_lshl_add_u64 v[16:17], v[14:15], 2, s[10:11]
	global_load_b32 v19, v[16:17], off
	s_wait_xcnt 0x0
	v_add_nc_u64_e32 v[16:17], 1, v[14:15]
	s_wait_loadcnt 0x0
	v_cmp_lt_i32_e32 vcc_lo, v19, v18
	s_delay_alu instid0(VALU_DEP_2) | instskip(SKIP_2) | instid1(SALU_CYCLE_1)
	v_dual_cndmask_b32 v7, v7, v17 :: v_dual_cndmask_b32 v6, v6, v16
	v_dual_cndmask_b32 v13, v15, v13 :: v_dual_cndmask_b32 v12, v14, v12
	s_or_b32 exec_lo, exec_lo, s0
	s_mov_b32 s0, exec_lo
	s_delay_alu instid0(VALU_DEP_1)
	v_cmpx_lt_u64_e64 v[6:7], v[12:13]
	s_cbranch_execz .LBB20_48
.LBB20_52:
	v_mad_nc_u64_u32 v[14:15], v12, 31, v[6:7]
	s_delay_alu instid0(VALU_DEP_1) | instskip(NEXT) | instid1(VALU_DEP_1)
	v_mad_u32 v15, v13, 31, v15
	v_lshrrev_b64 v[14:15], 5, v[14:15]
	s_delay_alu instid0(VALU_DEP_1)
	v_lshl_add_u64 v[16:17], v[14:15], 2, s[10:11]
	global_load_b32 v19, v[16:17], off
	s_wait_xcnt 0x0
	v_add_nc_u64_e32 v[16:17], 1, v[14:15]
	s_wait_loadcnt 0x0
	v_cmp_lt_i32_e32 vcc_lo, v19, v18
	s_delay_alu instid0(VALU_DEP_2) | instskip(SKIP_2) | instid1(SALU_CYCLE_1)
	v_dual_cndmask_b32 v7, v7, v17 :: v_dual_cndmask_b32 v6, v6, v16
	v_dual_cndmask_b32 v13, v15, v13 :: v_dual_cndmask_b32 v12, v14, v12
	s_or_b32 exec_lo, exec_lo, s0
	s_mov_b32 s0, exec_lo
	s_delay_alu instid0(VALU_DEP_1)
	v_cmpx_lt_u64_e64 v[6:7], v[12:13]
	s_cbranch_execz .LBB20_49
.LBB20_53:
	v_mad_nc_u64_u32 v[14:15], v12, 15, v[6:7]
	s_delay_alu instid0(VALU_DEP_1) | instskip(NEXT) | instid1(VALU_DEP_1)
	v_mad_u32 v15, v13, 15, v15
	v_lshrrev_b64 v[14:15], 4, v[14:15]
	s_delay_alu instid0(VALU_DEP_1)
	v_lshl_add_u64 v[16:17], v[14:15], 2, s[10:11]
	global_load_b32 v19, v[16:17], off
	s_wait_xcnt 0x0
	v_add_nc_u64_e32 v[16:17], 1, v[14:15]
	s_wait_loadcnt 0x0
	v_cmp_lt_i32_e32 vcc_lo, v19, v18
	s_delay_alu instid0(VALU_DEP_2) | instskip(SKIP_2) | instid1(SALU_CYCLE_1)
	v_dual_cndmask_b32 v7, v7, v17 :: v_dual_cndmask_b32 v6, v6, v16
	v_dual_cndmask_b32 v13, v15, v13 :: v_dual_cndmask_b32 v12, v14, v12
	s_or_b32 exec_lo, exec_lo, s0
	s_mov_b32 s0, exec_lo
	s_delay_alu instid0(VALU_DEP_1)
	v_cmpx_lt_u64_e64 v[6:7], v[12:13]
	s_cbranch_execz .LBB20_57
.LBB20_54:
	s_mov_b32 s4, 0
.LBB20_55:                              ; =>This Inner Loop Header: Depth=1
	v_add_nc_u64_e32 v[14:15], v[6:7], v[12:13]
	s_delay_alu instid0(VALU_DEP_1) | instskip(NEXT) | instid1(VALU_DEP_1)
	v_lshrrev_b64 v[14:15], 1, v[14:15]
	v_lshl_add_u64 v[16:17], v[14:15], 2, s[10:11]
	global_load_b32 v19, v[16:17], off
	s_wait_xcnt 0x0
	v_add_nc_u64_e32 v[16:17], 1, v[14:15]
	s_wait_loadcnt 0x0
	v_cmp_lt_i32_e32 vcc_lo, v19, v18
	s_delay_alu instid0(VALU_DEP_2) | instskip(SKIP_1) | instid1(VALU_DEP_1)
	v_dual_cndmask_b32 v7, v7, v17 :: v_dual_cndmask_b32 v6, v6, v16
	v_dual_cndmask_b32 v13, v15, v13 :: v_dual_cndmask_b32 v12, v14, v12
	v_cmp_ge_i64_e32 vcc_lo, v[6:7], v[12:13]
	s_or_b32 s4, vcc_lo, s4
	s_delay_alu instid0(SALU_CYCLE_1)
	s_and_not1_b32 exec_lo, exec_lo, s4
	s_cbranch_execnz .LBB20_55
; %bb.56:
	s_or_b32 exec_lo, exec_lo, s4
.LBB20_57:
	s_delay_alu instid0(SALU_CYCLE_1)
	s_or_b32 exec_lo, exec_lo, s0
	v_mov_b64_e32 v[12:13], 0
	v_mov_b64_e32 v[14:15], v[10:11]
	s_mov_b32 s0, exec_lo
	v_cmpx_lt_i64_e32 0, v[10:11]
	s_cbranch_execnz .LBB20_62
; %bb.58:
	s_or_b32 exec_lo, exec_lo, s0
	s_delay_alu instid0(SALU_CYCLE_1) | instskip(NEXT) | instid1(VALU_DEP_2)
	s_mov_b32 s0, exec_lo
	v_cmpx_lt_i64_e64 v[12:13], v[14:15]
	s_cbranch_execnz .LBB20_63
.LBB20_59:
	s_or_b32 exec_lo, exec_lo, s0
	s_delay_alu instid0(SALU_CYCLE_1)
	s_mov_b32 s0, exec_lo
	v_cmpx_lt_i64_e64 v[12:13], v[14:15]
	s_cbranch_execnz .LBB20_64
.LBB20_60:
	s_or_b32 exec_lo, exec_lo, s0
	s_delay_alu instid0(SALU_CYCLE_1)
	s_mov_b32 s0, exec_lo
	v_cmpx_lt_i64_e64 v[12:13], v[14:15]
	s_cbranch_execnz .LBB20_65
.LBB20_61:
	s_or_b32 exec_lo, exec_lo, s0
	s_delay_alu instid0(SALU_CYCLE_1)
	s_mov_b32 s0, exec_lo
	v_cmpx_lt_i64_e64 v[12:13], v[14:15]
	s_cbranch_execnz .LBB20_66
	s_branch .LBB20_69
.LBB20_62:
	v_mul_u64_e32 v[12:13], 0x1ff, v[10:11]
	s_delay_alu instid0(VALU_DEP_1) | instskip(NEXT) | instid1(VALU_DEP_1)
	v_lshrrev_b64 v[14:15], 9, v[12:13]
	v_lshl_add_u64 v[12:13], v[14:15], 2, s[2:3]
	global_load_b32 v16, v[12:13], off
	s_wait_xcnt 0x0
	v_add_nc_u64_e32 v[12:13], 1, v[14:15]
	s_wait_loadcnt 0x0
	v_cmp_lt_i32_e32 vcc_lo, v16, v18
	s_delay_alu instid0(VALU_DEP_2) | instskip(SKIP_2) | instid1(SALU_CYCLE_1)
	v_dual_cndmask_b32 v13, 0, v13 :: v_dual_cndmask_b32 v12, 0, v12
	v_dual_cndmask_b32 v15, v15, v11 :: v_dual_cndmask_b32 v14, v14, v10
	s_or_b32 exec_lo, exec_lo, s0
	s_mov_b32 s0, exec_lo
	s_delay_alu instid0(VALU_DEP_1)
	v_cmpx_lt_i64_e64 v[12:13], v[14:15]
	s_cbranch_execz .LBB20_59
.LBB20_63:
	v_mad_nc_u64_u32 v[16:17], 0x7f, v14, v[12:13]
	s_delay_alu instid0(VALU_DEP_1) | instskip(NEXT) | instid1(VALU_DEP_1)
	v_mad_u32 v17, 0x7f, v15, v17
	v_lshrrev_b64 v[16:17], 7, v[16:17]
	s_delay_alu instid0(VALU_DEP_1)
	v_lshl_add_u64 v[20:21], v[16:17], 2, s[2:3]
	global_load_b32 v19, v[20:21], off
	s_wait_xcnt 0x0
	v_add_nc_u64_e32 v[20:21], 1, v[16:17]
	s_wait_loadcnt 0x0
	v_cmp_lt_i32_e32 vcc_lo, v19, v18
	s_delay_alu instid0(VALU_DEP_2) | instskip(SKIP_2) | instid1(SALU_CYCLE_1)
	v_dual_cndmask_b32 v13, v13, v21 :: v_dual_cndmask_b32 v12, v12, v20
	v_dual_cndmask_b32 v15, v17, v15 :: v_dual_cndmask_b32 v14, v16, v14
	s_or_b32 exec_lo, exec_lo, s0
	s_mov_b32 s0, exec_lo
	s_delay_alu instid0(VALU_DEP_1)
	v_cmpx_lt_i64_e64 v[12:13], v[14:15]
	s_cbranch_execz .LBB20_60
.LBB20_64:
	v_mad_nc_u64_u32 v[16:17], v14, 31, v[12:13]
	s_delay_alu instid0(VALU_DEP_1) | instskip(NEXT) | instid1(VALU_DEP_1)
	v_mad_u32 v17, v15, 31, v17
	v_lshrrev_b64 v[16:17], 5, v[16:17]
	s_delay_alu instid0(VALU_DEP_1)
	v_lshl_add_u64 v[20:21], v[16:17], 2, s[2:3]
	global_load_b32 v19, v[20:21], off
	s_wait_xcnt 0x0
	v_add_nc_u64_e32 v[20:21], 1, v[16:17]
	s_wait_loadcnt 0x0
	v_cmp_lt_i32_e32 vcc_lo, v19, v18
	s_delay_alu instid0(VALU_DEP_2) | instskip(SKIP_2) | instid1(SALU_CYCLE_1)
	v_dual_cndmask_b32 v13, v13, v21 :: v_dual_cndmask_b32 v12, v12, v20
	v_dual_cndmask_b32 v15, v17, v15 :: v_dual_cndmask_b32 v14, v16, v14
	s_or_b32 exec_lo, exec_lo, s0
	s_mov_b32 s0, exec_lo
	s_delay_alu instid0(VALU_DEP_1)
	v_cmpx_lt_i64_e64 v[12:13], v[14:15]
	s_cbranch_execz .LBB20_61
.LBB20_65:
	v_mad_nc_u64_u32 v[16:17], v14, 15, v[12:13]
	s_delay_alu instid0(VALU_DEP_1) | instskip(NEXT) | instid1(VALU_DEP_1)
	v_mad_u32 v17, v15, 15, v17
	v_lshrrev_b64 v[16:17], 4, v[16:17]
	s_delay_alu instid0(VALU_DEP_1)
	v_lshl_add_u64 v[20:21], v[16:17], 2, s[2:3]
	global_load_b32 v19, v[20:21], off
	s_wait_xcnt 0x0
	v_add_nc_u64_e32 v[20:21], 1, v[16:17]
	s_wait_loadcnt 0x0
	v_cmp_lt_i32_e32 vcc_lo, v19, v18
	s_delay_alu instid0(VALU_DEP_2) | instskip(SKIP_2) | instid1(SALU_CYCLE_1)
	v_dual_cndmask_b32 v13, v13, v21 :: v_dual_cndmask_b32 v12, v12, v20
	v_dual_cndmask_b32 v15, v17, v15 :: v_dual_cndmask_b32 v14, v16, v14
	s_or_b32 exec_lo, exec_lo, s0
	s_mov_b32 s0, exec_lo
	s_delay_alu instid0(VALU_DEP_1)
	v_cmpx_lt_i64_e64 v[12:13], v[14:15]
	s_cbranch_execz .LBB20_69
.LBB20_66:
	s_mov_b32 s4, 0
.LBB20_67:                              ; =>This Inner Loop Header: Depth=1
	v_add_nc_u64_e32 v[16:17], v[12:13], v[14:15]
	s_delay_alu instid0(VALU_DEP_1) | instskip(NEXT) | instid1(VALU_DEP_1)
	v_lshrrev_b64 v[16:17], 1, v[16:17]
	v_lshl_add_u64 v[20:21], v[16:17], 2, s[2:3]
	global_load_b32 v19, v[20:21], off
	s_wait_xcnt 0x0
	v_add_nc_u64_e32 v[20:21], 1, v[16:17]
	s_wait_loadcnt 0x0
	v_cmp_lt_i32_e32 vcc_lo, v19, v18
	s_delay_alu instid0(VALU_DEP_2) | instskip(SKIP_1) | instid1(VALU_DEP_1)
	v_dual_cndmask_b32 v13, v13, v21 :: v_dual_cndmask_b32 v12, v12, v20
	v_dual_cndmask_b32 v15, v17, v15 :: v_dual_cndmask_b32 v14, v16, v14
	v_cmp_ge_i64_e32 vcc_lo, v[12:13], v[14:15]
	s_or_b32 s4, vcc_lo, s4
	s_delay_alu instid0(SALU_CYCLE_1)
	s_and_not1_b32 exec_lo, exec_lo, s4
	s_cbranch_execnz .LBB20_67
; %bb.68:
	s_or_b32 exec_lo, exec_lo, s4
.LBB20_69:
	s_delay_alu instid0(SALU_CYCLE_1) | instskip(SKIP_3) | instid1(VALU_DEP_1)
	s_or_b32 exec_lo, exec_lo, s0
	v_sub_nc_u64_e32 v[0:1], v[0:1], v[6:7]
	v_sub_nc_u64_e32 v[16:17], v[10:11], v[12:13]
	s_mov_b32 s0, exec_lo
	v_add_nc_u64_e32 v[14:15], v[16:17], v[0:1]
	s_delay_alu instid0(VALU_DEP_1) | instskip(NEXT) | instid1(VALU_DEP_1)
	v_ashrrev_i64 v[0:1], 1, v[14:15]
	v_max_i64 v[0:1], v[0:1], v[16:17]
	s_delay_alu instid0(VALU_DEP_1) | instskip(NEXT) | instid1(VALU_DEP_1)
	v_add_nc_u64_e32 v[12:13], v[12:13], v[0:1]
	v_add_nc_u64_e32 v[12:13], 1, v[12:13]
	s_delay_alu instid0(VALU_DEP_1) | instskip(NEXT) | instid1(VALU_DEP_1)
	v_min_i64 v[12:13], v[12:13], s[6:7]
	v_sub_nc_u64_e32 v[12:13], v[12:13], v[10:11]
	v_mov_b64_e32 v[10:11], 0
	s_delay_alu instid0(VALU_DEP_2)
	v_cmpx_lt_i64_e32 0, v[12:13]
	s_cbranch_execz .LBB20_73
; %bb.70:
	v_mov_b64_e32 v[10:11], 0
	s_mov_b32 s2, 0
.LBB20_71:                              ; =>This Inner Loop Header: Depth=1
	s_delay_alu instid0(VALU_DEP_1) | instskip(NEXT) | instid1(VALU_DEP_1)
	v_add_nc_u64_e32 v[20:21], v[10:11], v[12:13]
	v_lshrrev_b64 v[20:21], 1, v[20:21]
	s_delay_alu instid0(VALU_DEP_1)
	v_lshl_add_u64 v[22:23], v[20:21], 2, v[8:9]
	global_load_b32 v19, v[22:23], off
	s_wait_xcnt 0x0
	v_add_nc_u64_e32 v[22:23], 1, v[20:21]
	s_wait_loadcnt 0x0
	v_cmp_lt_i32_e32 vcc_lo, v18, v19
	s_delay_alu instid0(VALU_DEP_2) | instskip(SKIP_1) | instid1(VALU_DEP_1)
	v_dual_cndmask_b32 v11, v23, v11 :: v_dual_cndmask_b32 v10, v22, v10
	v_dual_cndmask_b32 v13, v13, v21 :: v_dual_cndmask_b32 v12, v12, v20
	v_cmp_ge_i64_e32 vcc_lo, v[10:11], v[12:13]
	s_or_b32 s2, vcc_lo, s2
	s_delay_alu instid0(SALU_CYCLE_1)
	s_and_not1_b32 exec_lo, exec_lo, s2
	s_cbranch_execnz .LBB20_71
; %bb.72:
	s_or_b32 exec_lo, exec_lo, s2
	v_ashrrev_i32_e32 v11, 31, v10
.LBB20_73:
	s_or_b32 exec_lo, exec_lo, s0
	s_delay_alu instid0(VALU_DEP_1) | instskip(SKIP_1) | instid1(VALU_DEP_1)
	v_add_nc_u64_e32 v[8:9], v[10:11], v[16:17]
	s_mov_b32 s2, 0
	v_min_i64 v[10:11], v[8:9], v[0:1]
	v_cmp_lt_i64_e32 vcc_lo, v[0:1], v[8:9]
	s_delay_alu instid0(VALU_DEP_2) | instskip(SKIP_1) | instid1(VALU_DEP_2)
	v_sub_nc_u64_e32 v[12:13], v[14:15], v[10:11]
	v_add_nc_u64_e32 v[10:11], 1, v[10:11]
	v_add_nc_u64_e32 v[0:1], v[12:13], v[6:7]
	s_delay_alu instid0(VALU_DEP_2) | instskip(SKIP_2) | instid1(SALU_CYCLE_1)
	v_cmp_eq_u64_e64 s0, v[12:13], v[10:11]
	v_mov_b32_e32 v7, s2
	s_and_b32 s0, s0, vcc_lo
	v_cndmask_b32_e64 v6, 0, 1, s0
.LBB20_74:
	s_or_b32 exec_lo, exec_lo, s1
	s_delay_alu instid0(VALU_DEP_1) | instskip(SKIP_1) | instid1(VALU_DEP_2)
	v_add_nc_u64_e32 v[2:3], v[6:7], v[2:3]
	v_lshl_add_u64 v[4:5], v[4:5], 4, s[8:9]
	v_sub_nc_u64_e32 v[2:3], v[2:3], v[0:1]
	global_store_b128 v[4:5], v[0:3], off
	s_endpgm
	.section	.rodata,"a",@progbits
	.p2align	6, 0x0
	.amdhsa_kernel _ZN6thrust23THRUST_200600_302600_NS11hip_rocprim14__parallel_for6kernelILj256EZNS1_16__set_operations9doit_stepILb0ENS0_6detail15normal_iteratorINS0_10device_ptrIKiEEEESB_PiSC_lNS7_INS8_IiEEEESC_NS0_4lessIiEENS4_16serial_set_unionEEE10hipError_tPvRmT0_T1_T2_T3_T4_SP_T5_T6_PSP_T7_T8_P12ihipStream_tbEUllE_jLj1EEEvSL_SM_SM_
		.amdhsa_group_segment_fixed_size 0
		.amdhsa_private_segment_fixed_size 0
		.amdhsa_kernarg_size 56
		.amdhsa_user_sgpr_count 2
		.amdhsa_user_sgpr_dispatch_ptr 0
		.amdhsa_user_sgpr_queue_ptr 0
		.amdhsa_user_sgpr_kernarg_segment_ptr 1
		.amdhsa_user_sgpr_dispatch_id 0
		.amdhsa_user_sgpr_kernarg_preload_length 0
		.amdhsa_user_sgpr_kernarg_preload_offset 0
		.amdhsa_user_sgpr_private_segment_size 0
		.amdhsa_wavefront_size32 1
		.amdhsa_uses_dynamic_stack 0
		.amdhsa_enable_private_segment 0
		.amdhsa_system_sgpr_workgroup_id_x 1
		.amdhsa_system_sgpr_workgroup_id_y 0
		.amdhsa_system_sgpr_workgroup_id_z 0
		.amdhsa_system_sgpr_workgroup_info 0
		.amdhsa_system_vgpr_workitem_id 0
		.amdhsa_next_free_vgpr 25
		.amdhsa_next_free_sgpr 16
		.amdhsa_named_barrier_count 0
		.amdhsa_reserve_vcc 1
		.amdhsa_float_round_mode_32 0
		.amdhsa_float_round_mode_16_64 0
		.amdhsa_float_denorm_mode_32 3
		.amdhsa_float_denorm_mode_16_64 3
		.amdhsa_fp16_overflow 0
		.amdhsa_memory_ordered 1
		.amdhsa_forward_progress 1
		.amdhsa_inst_pref_size 32
		.amdhsa_round_robin_scheduling 0
		.amdhsa_exception_fp_ieee_invalid_op 0
		.amdhsa_exception_fp_denorm_src 0
		.amdhsa_exception_fp_ieee_div_zero 0
		.amdhsa_exception_fp_ieee_overflow 0
		.amdhsa_exception_fp_ieee_underflow 0
		.amdhsa_exception_fp_ieee_inexact 0
		.amdhsa_exception_int_div_zero 0
	.end_amdhsa_kernel
	.section	.text._ZN6thrust23THRUST_200600_302600_NS11hip_rocprim14__parallel_for6kernelILj256EZNS1_16__set_operations9doit_stepILb0ENS0_6detail15normal_iteratorINS0_10device_ptrIKiEEEESB_PiSC_lNS7_INS8_IiEEEESC_NS0_4lessIiEENS4_16serial_set_unionEEE10hipError_tPvRmT0_T1_T2_T3_T4_SP_T5_T6_PSP_T7_T8_P12ihipStream_tbEUllE_jLj1EEEvSL_SM_SM_,"axG",@progbits,_ZN6thrust23THRUST_200600_302600_NS11hip_rocprim14__parallel_for6kernelILj256EZNS1_16__set_operations9doit_stepILb0ENS0_6detail15normal_iteratorINS0_10device_ptrIKiEEEESB_PiSC_lNS7_INS8_IiEEEESC_NS0_4lessIiEENS4_16serial_set_unionEEE10hipError_tPvRmT0_T1_T2_T3_T4_SP_T5_T6_PSP_T7_T8_P12ihipStream_tbEUllE_jLj1EEEvSL_SM_SM_,comdat
.Lfunc_end20:
	.size	_ZN6thrust23THRUST_200600_302600_NS11hip_rocprim14__parallel_for6kernelILj256EZNS1_16__set_operations9doit_stepILb0ENS0_6detail15normal_iteratorINS0_10device_ptrIKiEEEESB_PiSC_lNS7_INS8_IiEEEESC_NS0_4lessIiEENS4_16serial_set_unionEEE10hipError_tPvRmT0_T1_T2_T3_T4_SP_T5_T6_PSP_T7_T8_P12ihipStream_tbEUllE_jLj1EEEvSL_SM_SM_, .Lfunc_end20-_ZN6thrust23THRUST_200600_302600_NS11hip_rocprim14__parallel_for6kernelILj256EZNS1_16__set_operations9doit_stepILb0ENS0_6detail15normal_iteratorINS0_10device_ptrIKiEEEESB_PiSC_lNS7_INS8_IiEEEESC_NS0_4lessIiEENS4_16serial_set_unionEEE10hipError_tPvRmT0_T1_T2_T3_T4_SP_T5_T6_PSP_T7_T8_P12ihipStream_tbEUllE_jLj1EEEvSL_SM_SM_
                                        ; -- End function
	.set _ZN6thrust23THRUST_200600_302600_NS11hip_rocprim14__parallel_for6kernelILj256EZNS1_16__set_operations9doit_stepILb0ENS0_6detail15normal_iteratorINS0_10device_ptrIKiEEEESB_PiSC_lNS7_INS8_IiEEEESC_NS0_4lessIiEENS4_16serial_set_unionEEE10hipError_tPvRmT0_T1_T2_T3_T4_SP_T5_T6_PSP_T7_T8_P12ihipStream_tbEUllE_jLj1EEEvSL_SM_SM_.num_vgpr, 25
	.set _ZN6thrust23THRUST_200600_302600_NS11hip_rocprim14__parallel_for6kernelILj256EZNS1_16__set_operations9doit_stepILb0ENS0_6detail15normal_iteratorINS0_10device_ptrIKiEEEESB_PiSC_lNS7_INS8_IiEEEESC_NS0_4lessIiEENS4_16serial_set_unionEEE10hipError_tPvRmT0_T1_T2_T3_T4_SP_T5_T6_PSP_T7_T8_P12ihipStream_tbEUllE_jLj1EEEvSL_SM_SM_.num_agpr, 0
	.set _ZN6thrust23THRUST_200600_302600_NS11hip_rocprim14__parallel_for6kernelILj256EZNS1_16__set_operations9doit_stepILb0ENS0_6detail15normal_iteratorINS0_10device_ptrIKiEEEESB_PiSC_lNS7_INS8_IiEEEESC_NS0_4lessIiEENS4_16serial_set_unionEEE10hipError_tPvRmT0_T1_T2_T3_T4_SP_T5_T6_PSP_T7_T8_P12ihipStream_tbEUllE_jLj1EEEvSL_SM_SM_.numbered_sgpr, 16
	.set _ZN6thrust23THRUST_200600_302600_NS11hip_rocprim14__parallel_for6kernelILj256EZNS1_16__set_operations9doit_stepILb0ENS0_6detail15normal_iteratorINS0_10device_ptrIKiEEEESB_PiSC_lNS7_INS8_IiEEEESC_NS0_4lessIiEENS4_16serial_set_unionEEE10hipError_tPvRmT0_T1_T2_T3_T4_SP_T5_T6_PSP_T7_T8_P12ihipStream_tbEUllE_jLj1EEEvSL_SM_SM_.num_named_barrier, 0
	.set _ZN6thrust23THRUST_200600_302600_NS11hip_rocprim14__parallel_for6kernelILj256EZNS1_16__set_operations9doit_stepILb0ENS0_6detail15normal_iteratorINS0_10device_ptrIKiEEEESB_PiSC_lNS7_INS8_IiEEEESC_NS0_4lessIiEENS4_16serial_set_unionEEE10hipError_tPvRmT0_T1_T2_T3_T4_SP_T5_T6_PSP_T7_T8_P12ihipStream_tbEUllE_jLj1EEEvSL_SM_SM_.private_seg_size, 0
	.set _ZN6thrust23THRUST_200600_302600_NS11hip_rocprim14__parallel_for6kernelILj256EZNS1_16__set_operations9doit_stepILb0ENS0_6detail15normal_iteratorINS0_10device_ptrIKiEEEESB_PiSC_lNS7_INS8_IiEEEESC_NS0_4lessIiEENS4_16serial_set_unionEEE10hipError_tPvRmT0_T1_T2_T3_T4_SP_T5_T6_PSP_T7_T8_P12ihipStream_tbEUllE_jLj1EEEvSL_SM_SM_.uses_vcc, 1
	.set _ZN6thrust23THRUST_200600_302600_NS11hip_rocprim14__parallel_for6kernelILj256EZNS1_16__set_operations9doit_stepILb0ENS0_6detail15normal_iteratorINS0_10device_ptrIKiEEEESB_PiSC_lNS7_INS8_IiEEEESC_NS0_4lessIiEENS4_16serial_set_unionEEE10hipError_tPvRmT0_T1_T2_T3_T4_SP_T5_T6_PSP_T7_T8_P12ihipStream_tbEUllE_jLj1EEEvSL_SM_SM_.uses_flat_scratch, 0
	.set _ZN6thrust23THRUST_200600_302600_NS11hip_rocprim14__parallel_for6kernelILj256EZNS1_16__set_operations9doit_stepILb0ENS0_6detail15normal_iteratorINS0_10device_ptrIKiEEEESB_PiSC_lNS7_INS8_IiEEEESC_NS0_4lessIiEENS4_16serial_set_unionEEE10hipError_tPvRmT0_T1_T2_T3_T4_SP_T5_T6_PSP_T7_T8_P12ihipStream_tbEUllE_jLj1EEEvSL_SM_SM_.has_dyn_sized_stack, 0
	.set _ZN6thrust23THRUST_200600_302600_NS11hip_rocprim14__parallel_for6kernelILj256EZNS1_16__set_operations9doit_stepILb0ENS0_6detail15normal_iteratorINS0_10device_ptrIKiEEEESB_PiSC_lNS7_INS8_IiEEEESC_NS0_4lessIiEENS4_16serial_set_unionEEE10hipError_tPvRmT0_T1_T2_T3_T4_SP_T5_T6_PSP_T7_T8_P12ihipStream_tbEUllE_jLj1EEEvSL_SM_SM_.has_recursion, 0
	.set _ZN6thrust23THRUST_200600_302600_NS11hip_rocprim14__parallel_for6kernelILj256EZNS1_16__set_operations9doit_stepILb0ENS0_6detail15normal_iteratorINS0_10device_ptrIKiEEEESB_PiSC_lNS7_INS8_IiEEEESC_NS0_4lessIiEENS4_16serial_set_unionEEE10hipError_tPvRmT0_T1_T2_T3_T4_SP_T5_T6_PSP_T7_T8_P12ihipStream_tbEUllE_jLj1EEEvSL_SM_SM_.has_indirect_call, 0
	.section	.AMDGPU.csdata,"",@progbits
; Kernel info:
; codeLenInByte = 3992
; TotalNumSgprs: 18
; NumVgprs: 25
; ScratchSize: 0
; MemoryBound: 0
; FloatMode: 240
; IeeeMode: 1
; LDSByteSize: 0 bytes/workgroup (compile time only)
; SGPRBlocks: 0
; VGPRBlocks: 1
; NumSGPRsForWavesPerEU: 18
; NumVGPRsForWavesPerEU: 25
; NamedBarCnt: 0
; Occupancy: 16
; WaveLimiterHint : 0
; COMPUTE_PGM_RSRC2:SCRATCH_EN: 0
; COMPUTE_PGM_RSRC2:USER_SGPR: 2
; COMPUTE_PGM_RSRC2:TRAP_HANDLER: 0
; COMPUTE_PGM_RSRC2:TGID_X_EN: 1
; COMPUTE_PGM_RSRC2:TGID_Y_EN: 0
; COMPUTE_PGM_RSRC2:TGID_Z_EN: 0
; COMPUTE_PGM_RSRC2:TIDIG_COMP_CNT: 0
	.section	.text._ZN6thrust23THRUST_200600_302600_NS11hip_rocprim16__set_operations22lookback_set_op_kernelIN7rocprim17ROCPRIM_400000_NS13kernel_configILj256ELj16ELj4294967295EEELb0ENS0_6detail15normal_iteratorINS0_10device_ptrIKiEEEESD_PiSE_lNS9_INSA_IiEEEESE_NS0_4lessIiEENS2_16serial_set_unionENS5_6detail19lookback_scan_stateIlLb0ELb1EEEEEvT1_T2_T3_T4_T6_T7_T8_T9_PNS0_4pairIT5_SW_EEPSW_T10_NSK_16ordered_block_idIjEE,"axG",@progbits,_ZN6thrust23THRUST_200600_302600_NS11hip_rocprim16__set_operations22lookback_set_op_kernelIN7rocprim17ROCPRIM_400000_NS13kernel_configILj256ELj16ELj4294967295EEELb0ENS0_6detail15normal_iteratorINS0_10device_ptrIKiEEEESD_PiSE_lNS9_INSA_IiEEEESE_NS0_4lessIiEENS2_16serial_set_unionENS5_6detail19lookback_scan_stateIlLb0ELb1EEEEEvT1_T2_T3_T4_T6_T7_T8_T9_PNS0_4pairIT5_SW_EEPSW_T10_NSK_16ordered_block_idIjEE,comdat
	.protected	_ZN6thrust23THRUST_200600_302600_NS11hip_rocprim16__set_operations22lookback_set_op_kernelIN7rocprim17ROCPRIM_400000_NS13kernel_configILj256ELj16ELj4294967295EEELb0ENS0_6detail15normal_iteratorINS0_10device_ptrIKiEEEESD_PiSE_lNS9_INSA_IiEEEESE_NS0_4lessIiEENS2_16serial_set_unionENS5_6detail19lookback_scan_stateIlLb0ELb1EEEEEvT1_T2_T3_T4_T6_T7_T8_T9_PNS0_4pairIT5_SW_EEPSW_T10_NSK_16ordered_block_idIjEE ; -- Begin function _ZN6thrust23THRUST_200600_302600_NS11hip_rocprim16__set_operations22lookback_set_op_kernelIN7rocprim17ROCPRIM_400000_NS13kernel_configILj256ELj16ELj4294967295EEELb0ENS0_6detail15normal_iteratorINS0_10device_ptrIKiEEEESD_PiSE_lNS9_INSA_IiEEEESE_NS0_4lessIiEENS2_16serial_set_unionENS5_6detail19lookback_scan_stateIlLb0ELb1EEEEEvT1_T2_T3_T4_T6_T7_T8_T9_PNS0_4pairIT5_SW_EEPSW_T10_NSK_16ordered_block_idIjEE
	.globl	_ZN6thrust23THRUST_200600_302600_NS11hip_rocprim16__set_operations22lookback_set_op_kernelIN7rocprim17ROCPRIM_400000_NS13kernel_configILj256ELj16ELj4294967295EEELb0ENS0_6detail15normal_iteratorINS0_10device_ptrIKiEEEESD_PiSE_lNS9_INSA_IiEEEESE_NS0_4lessIiEENS2_16serial_set_unionENS5_6detail19lookback_scan_stateIlLb0ELb1EEEEEvT1_T2_T3_T4_T6_T7_T8_T9_PNS0_4pairIT5_SW_EEPSW_T10_NSK_16ordered_block_idIjEE
	.p2align	8
	.type	_ZN6thrust23THRUST_200600_302600_NS11hip_rocprim16__set_operations22lookback_set_op_kernelIN7rocprim17ROCPRIM_400000_NS13kernel_configILj256ELj16ELj4294967295EEELb0ENS0_6detail15normal_iteratorINS0_10device_ptrIKiEEEESD_PiSE_lNS9_INSA_IiEEEESE_NS0_4lessIiEENS2_16serial_set_unionENS5_6detail19lookback_scan_stateIlLb0ELb1EEEEEvT1_T2_T3_T4_T6_T7_T8_T9_PNS0_4pairIT5_SW_EEPSW_T10_NSK_16ordered_block_idIjEE,@function
_ZN6thrust23THRUST_200600_302600_NS11hip_rocprim16__set_operations22lookback_set_op_kernelIN7rocprim17ROCPRIM_400000_NS13kernel_configILj256ELj16ELj4294967295EEELb0ENS0_6detail15normal_iteratorINS0_10device_ptrIKiEEEESD_PiSE_lNS9_INSA_IiEEEESE_NS0_4lessIiEENS2_16serial_set_unionENS5_6detail19lookback_scan_stateIlLb0ELb1EEEEEvT1_T2_T3_T4_T6_T7_T8_T9_PNS0_4pairIT5_SW_EEPSW_T10_NSK_16ordered_block_idIjEE: ; @_ZN6thrust23THRUST_200600_302600_NS11hip_rocprim16__set_operations22lookback_set_op_kernelIN7rocprim17ROCPRIM_400000_NS13kernel_configILj256ELj16ELj4294967295EEELb0ENS0_6detail15normal_iteratorINS0_10device_ptrIKiEEEESD_PiSE_lNS9_INSA_IiEEEESE_NS0_4lessIiEENS2_16serial_set_unionENS5_6detail19lookback_scan_stateIlLb0ELb1EEEEEvT1_T2_T3_T4_T6_T7_T8_T9_PNS0_4pairIT5_SW_EEPSW_T10_NSK_16ordered_block_idIjEE
; %bb.0:
	s_clause 0x1
	s_load_b32 s3, s[0:1], 0x64
	s_load_b32 s2, s[0:1], 0x58
	v_bfe_u32 v1, v0, 10, 10
	v_bfe_u32 v2, v0, 20, 10
	s_load_b256 s[24:31], s[0:1], 0x38
	v_and_b32_e32 v16, 0x3ff, v0
	s_delay_alu instid0(VALU_DEP_1) | instskip(SKIP_4) | instid1(VALU_DEP_1)
	v_sub_nc_u32_e32 v0, 0, v16
	s_wait_kmcnt 0x0
	s_lshr_b32 s4, s3, 16
	s_and_b32 s3, s3, 0xffff
	v_mad_u32_u24 v1, v2, s4, v1
	v_mul_lo_u32 v1, v1, s3
	s_mov_b32 s3, exec_lo
	s_delay_alu instid0(VALU_DEP_1)
	v_cmpx_eq_u32_e64 v1, v0
	s_cbranch_execz .LBB21_4
; %bb.1:
	s_mov_b32 s5, exec_lo
	s_mov_b32 s4, exec_lo
	v_mbcnt_lo_u32_b32 v0, s5, 0
                                        ; implicit-def: $vgpr1
	s_delay_alu instid0(VALU_DEP_1)
	v_cmpx_eq_u32_e32 0, v0
	s_cbranch_execz .LBB21_3
; %bb.2:
	s_bcnt1_i32_b32 s5, s5
	s_delay_alu instid0(SALU_CYCLE_1)
	v_dual_mov_b32 v1, 0 :: v_dual_mov_b32 v2, s5
	global_atomic_add_u32 v1, v1, v2, s[30:31] th:TH_ATOMIC_RETURN scope:SCOPE_DEV
.LBB21_3:
	s_wait_xcnt 0x0
	s_or_b32 exec_lo, exec_lo, s4
	s_wait_loadcnt 0x0
	v_readfirstlane_b32 s4, v1
	s_delay_alu instid0(VALU_DEP_1)
	v_dual_mov_b32 v1, 0 :: v_dual_add_nc_u32 v0, s4, v0
	ds_store_b32 v1, v0 offset:36864
.LBB21_4:
	s_or_b32 exec_lo, exec_lo, s3
	v_mov_b32_e32 v0, 0
	s_wait_dscnt 0x0
	s_barrier_signal -1
	s_barrier_wait -1
	ds_load_b32 v1, v0 offset:36864
	s_load_b128 s[4:7], s[0:1], 0x0
	s_add_co_i32 s2, s2, -1
	s_wait_dscnt 0x0
	s_clause 0x1
	global_load_b128 v[2:5], v1, s[24:25] scale_offset
	global_load_b128 v[6:9], v1, s[24:25] offset:16 scale_offset
	s_wait_xcnt 0x0
	s_load_b64 s[24:25], s[0:1], 0x20
	v_cmp_le_i32_e32 vcc_lo, s2, v1
	v_readfirstlane_b32 s30, v1
	s_wait_xcnt 0x0
	s_mov_b32 s0, -1
	s_and_b32 vcc_lo, exec_lo, vcc_lo
	s_wait_loadcnt 0x1
	v_readfirstlane_b32 s3, v2
	v_lshlrev_b64_e32 v[10:11], 2, v[4:5]
	s_wait_loadcnt 0x0
	v_readfirstlane_b32 s1, v6
	s_delay_alu instid0(VALU_DEP_3) | instskip(SKIP_3) | instid1(VALU_DEP_2)
	v_dual_sub_nc_u32 v26, v8, v4 :: v_dual_mov_b32 v2, s3
	s_sub_co_i32 s31, s1, s3
	s_wait_kmcnt 0x0
	v_add_nc_u64_e32 v[18:19], s[6:7], v[10:11]
	v_lshlrev_b64_e32 v[2:3], 2, v[2:3]
	s_delay_alu instid0(VALU_DEP_1)
	v_add_nc_u64_e32 v[20:21], s[4:5], v[2:3]
	s_cbranch_vccz .LBB21_255
; %bb.5:
	v_dual_mov_b32 v1, v0 :: v_dual_add_nc_u32 v22, s31, v26
	v_dual_mov_b32 v2, v0 :: v_dual_mov_b32 v3, v0
	v_dual_mov_b32 v4, v0 :: v_dual_mov_b32 v5, v0
	;; [unrolled: 1-line block ×7, first 2 shown]
	s_mov_b32 s0, exec_lo
	v_cmpx_lt_i32_e64 v16, v22
	s_cbranch_execz .LBB21_7
; %bb.6:
	v_dual_mov_b32 v1, 0 :: v_dual_lshlrev_b32 v0, 2, v16
	v_cmp_gt_i32_e32 vcc_lo, s31, v16
	s_delay_alu instid0(VALU_DEP_2) | instskip(SKIP_3) | instid1(VALU_DEP_3)
	v_add_nc_u64_e32 v[2:3], v[20:21], v[0:1]
	v_subrev_nc_u32_e32 v0, s31, v16
	v_dual_mov_b32 v6, v1 :: v_dual_mov_b32 v7, v1
	v_dual_mov_b32 v8, v1 :: v_dual_mov_b32 v9, v1
	v_lshl_add_u64 v[4:5], v[0:1], 2, v[18:19]
	v_dual_mov_b32 v10, v1 :: v_dual_mov_b32 v11, v1
	v_dual_mov_b32 v12, v1 :: v_dual_mov_b32 v13, v1
	s_delay_alu instid0(VALU_DEP_3)
	v_dual_cndmask_b32 v3, v5, v3 :: v_dual_cndmask_b32 v2, v4, v2
	v_dual_mov_b32 v4, v1 :: v_dual_mov_b32 v5, v1
	v_dual_mov_b32 v14, v1 :: v_dual_mov_b32 v15, v1
	global_load_b32 v0, v[2:3], off
	s_wait_xcnt 0x0
	v_dual_mov_b32 v2, v1 :: v_dual_mov_b32 v3, v1
.LBB21_7:
	s_or_b32 exec_lo, exec_lo, s0
	v_add_nc_u32_e32 v17, 0x100, v16
	s_mov_b32 s0, exec_lo
	s_delay_alu instid0(VALU_DEP_1)
	v_cmpx_lt_i32_e64 v17, v22
	s_cbranch_execz .LBB21_9
; %bb.8:
	v_dual_mov_b32 v25, 0 :: v_dual_lshlrev_b32 v24, 2, v16
	v_cmp_gt_i32_e32 vcc_lo, s31, v17
	s_delay_alu instid0(VALU_DEP_2) | instskip(SKIP_1) | instid1(VALU_DEP_1)
	v_add_nc_u64_e32 v[28:29], v[20:21], v[24:25]
	v_subrev_nc_u32_e32 v24, s31, v17
	v_lshl_add_u64 v[24:25], v[24:25], 2, v[18:19]
	s_delay_alu instid0(VALU_DEP_3) | instskip(NEXT) | instid1(VALU_DEP_1)
	v_add_nc_u64_e32 v[28:29], 0x400, v[28:29]
	v_dual_cndmask_b32 v25, v25, v29 :: v_dual_cndmask_b32 v24, v24, v28
	global_load_b32 v1, v[24:25], off
.LBB21_9:
	s_wait_xcnt 0x0
	s_or_b32 exec_lo, exec_lo, s0
	v_add_nc_u32_e32 v23, 0x200, v16
	s_mov_b32 s0, exec_lo
	s_delay_alu instid0(VALU_DEP_1)
	v_cmpx_lt_i32_e64 v23, v22
	s_cbranch_execz .LBB21_11
; %bb.10:
	v_dual_mov_b32 v25, 0 :: v_dual_lshlrev_b32 v24, 2, v16
	v_cmp_gt_i32_e32 vcc_lo, s31, v23
	s_delay_alu instid0(VALU_DEP_2) | instskip(SKIP_1) | instid1(VALU_DEP_1)
	v_add_nc_u64_e32 v[28:29], v[20:21], v[24:25]
	v_subrev_nc_u32_e32 v24, s31, v23
	v_lshl_add_u64 v[24:25], v[24:25], 2, v[18:19]
	s_delay_alu instid0(VALU_DEP_3) | instskip(NEXT) | instid1(VALU_DEP_1)
	v_add_nc_u64_e32 v[28:29], 0x800, v[28:29]
	v_dual_cndmask_b32 v25, v25, v29 :: v_dual_cndmask_b32 v24, v24, v28
	global_load_b32 v2, v[24:25], off
.LBB21_11:
	s_wait_xcnt 0x0
	;; [unrolled: 19-line block ×3, first 2 shown]
	s_or_b32 exec_lo, exec_lo, s0
	v_or_b32_e32 v23, 0x400, v16
	s_mov_b32 s0, exec_lo
	s_delay_alu instid0(VALU_DEP_1)
	v_cmpx_lt_i32_e64 v23, v22
	s_cbranch_execz .LBB21_15
; %bb.14:
	v_dual_mov_b32 v25, 0 :: v_dual_lshlrev_b32 v24, 2, v16
	v_cmp_gt_i32_e32 vcc_lo, s31, v23
	s_delay_alu instid0(VALU_DEP_2) | instskip(SKIP_1) | instid1(VALU_DEP_1)
	v_add_nc_u64_e32 v[28:29], v[20:21], v[24:25]
	v_subrev_nc_u32_e32 v24, s31, v23
	v_lshl_add_u64 v[24:25], v[24:25], 2, v[18:19]
	s_delay_alu instid0(VALU_DEP_3) | instskip(NEXT) | instid1(VALU_DEP_1)
	v_add_nc_u64_e32 v[28:29], 0x1000, v[28:29]
	v_dual_cndmask_b32 v25, v25, v29 :: v_dual_cndmask_b32 v24, v24, v28
	global_load_b32 v4, v[24:25], off
.LBB21_15:
	s_wait_xcnt 0x0
	s_or_b32 exec_lo, exec_lo, s0
	v_add_nc_u32_e32 v23, 0x500, v16
	s_mov_b32 s0, exec_lo
	s_delay_alu instid0(VALU_DEP_1)
	v_cmpx_lt_i32_e64 v23, v22
	s_cbranch_execz .LBB21_17
; %bb.16:
	v_dual_mov_b32 v25, 0 :: v_dual_lshlrev_b32 v24, 2, v16
	v_cmp_gt_i32_e32 vcc_lo, s31, v23
	s_delay_alu instid0(VALU_DEP_2) | instskip(SKIP_1) | instid1(VALU_DEP_1)
	v_add_nc_u64_e32 v[28:29], v[20:21], v[24:25]
	v_subrev_nc_u32_e32 v24, s31, v23
	v_lshl_add_u64 v[24:25], v[24:25], 2, v[18:19]
	s_delay_alu instid0(VALU_DEP_3) | instskip(NEXT) | instid1(VALU_DEP_1)
	v_add_nc_u64_e32 v[28:29], 0x1400, v[28:29]
	v_dual_cndmask_b32 v25, v25, v29 :: v_dual_cndmask_b32 v24, v24, v28
	global_load_b32 v5, v[24:25], off
.LBB21_17:
	s_wait_xcnt 0x0
	s_or_b32 exec_lo, exec_lo, s0
	v_add_nc_u32_e32 v23, 0x600, v16
	;; [unrolled: 19-line block ×3, first 2 shown]
	s_mov_b32 s0, exec_lo
	s_delay_alu instid0(VALU_DEP_1)
	v_cmpx_lt_i32_e64 v23, v22
	s_cbranch_execz .LBB21_21
; %bb.20:
	v_dual_mov_b32 v25, 0 :: v_dual_lshlrev_b32 v24, 2, v16
	v_cmp_gt_i32_e32 vcc_lo, s31, v23
	s_delay_alu instid0(VALU_DEP_2) | instskip(SKIP_1) | instid1(VALU_DEP_1)
	v_add_nc_u64_e32 v[28:29], v[20:21], v[24:25]
	v_subrev_nc_u32_e32 v24, s31, v23
	v_lshl_add_u64 v[24:25], v[24:25], 2, v[18:19]
	s_delay_alu instid0(VALU_DEP_3) | instskip(NEXT) | instid1(VALU_DEP_1)
	v_add_nc_u64_e32 v[28:29], 0x1c00, v[28:29]
	v_dual_cndmask_b32 v25, v25, v29 :: v_dual_cndmask_b32 v24, v24, v28
	global_load_b32 v7, v[24:25], off
.LBB21_21:
	s_wait_xcnt 0x0
	s_or_b32 exec_lo, exec_lo, s0
	v_or_b32_e32 v23, 0x800, v16
	s_mov_b32 s0, exec_lo
	s_delay_alu instid0(VALU_DEP_1)
	v_cmpx_lt_i32_e64 v23, v22
	s_cbranch_execz .LBB21_23
; %bb.22:
	v_dual_mov_b32 v25, 0 :: v_dual_lshlrev_b32 v24, 2, v16
	v_cmp_gt_i32_e32 vcc_lo, s31, v23
	s_delay_alu instid0(VALU_DEP_2) | instskip(SKIP_1) | instid1(VALU_DEP_1)
	v_add_nc_u64_e32 v[28:29], v[20:21], v[24:25]
	v_subrev_nc_u32_e32 v24, s31, v23
	v_lshl_add_u64 v[24:25], v[24:25], 2, v[18:19]
	s_delay_alu instid0(VALU_DEP_3) | instskip(NEXT) | instid1(VALU_DEP_1)
	v_add_nc_u64_e32 v[28:29], 0x2000, v[28:29]
	v_dual_cndmask_b32 v25, v25, v29 :: v_dual_cndmask_b32 v24, v24, v28
	global_load_b32 v8, v[24:25], off
.LBB21_23:
	s_wait_xcnt 0x0
	s_or_b32 exec_lo, exec_lo, s0
	v_add_nc_u32_e32 v23, 0x900, v16
	s_mov_b32 s0, exec_lo
	s_delay_alu instid0(VALU_DEP_1)
	v_cmpx_lt_i32_e64 v23, v22
	s_cbranch_execz .LBB21_25
; %bb.24:
	v_dual_mov_b32 v25, 0 :: v_dual_lshlrev_b32 v24, 2, v16
	v_cmp_gt_i32_e32 vcc_lo, s31, v23
	s_delay_alu instid0(VALU_DEP_2) | instskip(SKIP_1) | instid1(VALU_DEP_1)
	v_add_nc_u64_e32 v[28:29], v[20:21], v[24:25]
	v_subrev_nc_u32_e32 v24, s31, v23
	v_lshl_add_u64 v[24:25], v[24:25], 2, v[18:19]
	s_delay_alu instid0(VALU_DEP_3) | instskip(NEXT) | instid1(VALU_DEP_1)
	v_add_nc_u64_e32 v[28:29], 0x2400, v[28:29]
	v_dual_cndmask_b32 v25, v25, v29 :: v_dual_cndmask_b32 v24, v24, v28
	global_load_b32 v9, v[24:25], off
.LBB21_25:
	s_wait_xcnt 0x0
	s_or_b32 exec_lo, exec_lo, s0
	v_add_nc_u32_e32 v23, 0xa00, v16
	;; [unrolled: 19-line block ×3, first 2 shown]
	s_mov_b32 s0, exec_lo
	s_delay_alu instid0(VALU_DEP_1)
	v_cmpx_lt_i32_e64 v23, v22
	s_cbranch_execz .LBB21_29
; %bb.28:
	v_dual_mov_b32 v25, 0 :: v_dual_lshlrev_b32 v24, 2, v16
	v_cmp_gt_i32_e32 vcc_lo, s31, v23
	s_delay_alu instid0(VALU_DEP_2) | instskip(SKIP_1) | instid1(VALU_DEP_1)
	v_add_nc_u64_e32 v[28:29], v[20:21], v[24:25]
	v_subrev_nc_u32_e32 v24, s31, v23
	v_lshl_add_u64 v[24:25], v[24:25], 2, v[18:19]
	s_delay_alu instid0(VALU_DEP_3) | instskip(NEXT) | instid1(VALU_DEP_1)
	v_add_nc_u64_e32 v[28:29], 0x2c00, v[28:29]
	v_dual_cndmask_b32 v25, v25, v29 :: v_dual_cndmask_b32 v24, v24, v28
	global_load_b32 v11, v[24:25], off
.LBB21_29:
	s_wait_xcnt 0x0
	s_or_b32 exec_lo, exec_lo, s0
	v_or_b32_e32 v23, 0xc00, v16
	s_mov_b32 s0, exec_lo
	s_delay_alu instid0(VALU_DEP_1)
	v_cmpx_lt_i32_e64 v23, v22
	s_cbranch_execz .LBB21_31
; %bb.30:
	v_dual_mov_b32 v25, 0 :: v_dual_lshlrev_b32 v24, 2, v16
	v_cmp_gt_i32_e32 vcc_lo, s31, v23
	s_delay_alu instid0(VALU_DEP_2) | instskip(SKIP_1) | instid1(VALU_DEP_1)
	v_add_nc_u64_e32 v[28:29], v[20:21], v[24:25]
	v_subrev_nc_u32_e32 v24, s31, v23
	v_lshl_add_u64 v[24:25], v[24:25], 2, v[18:19]
	s_delay_alu instid0(VALU_DEP_3) | instskip(NEXT) | instid1(VALU_DEP_1)
	v_add_nc_u64_e32 v[28:29], 0x3000, v[28:29]
	v_dual_cndmask_b32 v25, v25, v29 :: v_dual_cndmask_b32 v24, v24, v28
	global_load_b32 v12, v[24:25], off
.LBB21_31:
	s_wait_xcnt 0x0
	s_or_b32 exec_lo, exec_lo, s0
	v_add_nc_u32_e32 v23, 0xd00, v16
	s_mov_b32 s0, exec_lo
	s_delay_alu instid0(VALU_DEP_1)
	v_cmpx_lt_i32_e64 v23, v22
	s_cbranch_execz .LBB21_33
; %bb.32:
	v_dual_mov_b32 v25, 0 :: v_dual_lshlrev_b32 v24, 2, v16
	v_cmp_gt_i32_e32 vcc_lo, s31, v23
	s_delay_alu instid0(VALU_DEP_2) | instskip(SKIP_1) | instid1(VALU_DEP_1)
	v_add_nc_u64_e32 v[28:29], v[20:21], v[24:25]
	v_subrev_nc_u32_e32 v24, s31, v23
	v_lshl_add_u64 v[24:25], v[24:25], 2, v[18:19]
	s_delay_alu instid0(VALU_DEP_3) | instskip(NEXT) | instid1(VALU_DEP_1)
	v_add_nc_u64_e32 v[28:29], 0x3400, v[28:29]
	v_dual_cndmask_b32 v25, v25, v29 :: v_dual_cndmask_b32 v24, v24, v28
	global_load_b32 v13, v[24:25], off
.LBB21_33:
	s_wait_xcnt 0x0
	s_or_b32 exec_lo, exec_lo, s0
	v_add_nc_u32_e32 v23, 0xe00, v16
	;; [unrolled: 19-line block ×3, first 2 shown]
	s_mov_b32 s0, exec_lo
	s_delay_alu instid0(VALU_DEP_1)
	v_cmpx_lt_i32_e64 v23, v22
	s_cbranch_execz .LBB21_37
; %bb.36:
	v_dual_mov_b32 v25, 0 :: v_dual_lshlrev_b32 v24, 2, v16
	v_cmp_gt_i32_e32 vcc_lo, s31, v23
	s_delay_alu instid0(VALU_DEP_2) | instskip(SKIP_1) | instid1(VALU_DEP_1)
	v_add_nc_u64_e32 v[28:29], v[20:21], v[24:25]
	v_subrev_nc_u32_e32 v24, s31, v23
	v_lshl_add_u64 v[24:25], v[24:25], 2, v[18:19]
	s_delay_alu instid0(VALU_DEP_3) | instskip(NEXT) | instid1(VALU_DEP_1)
	v_add_nc_u64_e32 v[28:29], 0x3c00, v[28:29]
	v_dual_cndmask_b32 v25, v25, v29 :: v_dual_cndmask_b32 v24, v24, v28
	global_load_b32 v15, v[24:25], off
.LBB21_37:
	s_wait_xcnt 0x0
	s_or_b32 exec_lo, exec_lo, s0
	v_lshlrev_b32_e32 v23, 2, v16
	s_lshl_b32 s0, s31, 2
	s_mov_b32 s2, 0
	s_addk_co_i32 s0, 0x4800
	s_mov_b32 s1, exec_lo
	s_wait_loadcnt 0x0
	ds_store_2addr_stride64_b32 v23, v2, v3 offset0:84 offset1:88
	ds_store_2addr_stride64_b32 v23, v4, v5 offset0:92 offset1:96
	ds_store_2addr_stride64_b32 v23, v6, v7 offset0:100 offset1:104
	ds_store_2addr_stride64_b32 v23, v8, v9 offset0:108 offset1:112
	ds_store_2addr_stride64_b32 v23, v10, v11 offset0:116 offset1:120
	ds_store_2addr_stride64_b32 v23, v0, v1 offset0:76 offset1:80
	v_lshlrev_b32_e32 v0, 4, v16
	ds_store_2addr_stride64_b32 v23, v12, v13 offset0:124 offset1:128
	ds_store_2addr_stride64_b32 v23, v14, v15 offset0:132 offset1:136
	s_wait_dscnt 0x0
	s_barrier_signal -1
	v_min_i32_e32 v1, v22, v0
	s_barrier_wait -1
	s_delay_alu instid0(VALU_DEP_1) | instskip(NEXT) | instid1(VALU_DEP_1)
	v_dual_sub_nc_u32 v0, v1, v26 :: v_dual_min_i32 v2, s31, v1
	v_max_i32_e32 v0, 0, v0
	s_delay_alu instid0(VALU_DEP_1)
	v_cmpx_lt_i32_e64 v0, v2
	s_cbranch_execz .LBB21_41
; %bb.38:
	v_lshlrev_b32_e32 v3, 2, v1
	s_delay_alu instid0(VALU_DEP_1)
	v_add3_u32 v3, s0, v3, 0x400
.LBB21_39:                              ; =>This Inner Loop Header: Depth=1
	v_add_nc_u32_e32 v4, v2, v0
	s_delay_alu instid0(VALU_DEP_1) | instskip(NEXT) | instid1(VALU_DEP_1)
	v_lshrrev_b32_e32 v4, 1, v4
	v_not_b32_e32 v5, v4
	v_dual_lshlrev_b32 v6, 2, v4 :: v_dual_add_nc_u32 v7, 1, v4
	s_delay_alu instid0(VALU_DEP_2)
	v_lshl_add_u32 v5, v5, 2, v3
	ds_load_b32 v6, v6 offset:19456
	ds_load_b32 v5, v5
	s_wait_dscnt 0x0
	v_cmp_lt_i32_e32 vcc_lo, v5, v6
	v_cndmask_b32_e32 v2, v2, v4, vcc_lo
	v_cndmask_b32_e32 v0, v7, v0, vcc_lo
	s_delay_alu instid0(VALU_DEP_1) | instskip(SKIP_1) | instid1(SALU_CYCLE_1)
	v_cmp_ge_i32_e32 vcc_lo, v0, v2
	s_or_b32 s2, vcc_lo, s2
	s_and_not1_b32 exec_lo, exec_lo, s2
	s_cbranch_execnz .LBB21_39
; %bb.40:
	s_or_b32 exec_lo, exec_lo, s2
.LBB21_41:
	s_delay_alu instid0(SALU_CYCLE_1) | instskip(SKIP_3) | instid1(VALU_DEP_1)
	s_or_b32 exec_lo, exec_lo, s1
	v_dual_mov_b32 v4, 0 :: v_dual_add_nc_u32 v3, 0x4800, v23
	v_sub_nc_u32_e32 v6, v1, v0
	s_mov_b32 s1, exec_lo
	v_cmpx_lt_i32_e64 v6, v26
	s_cbranch_execz .LBB21_71
; %bb.42:
	v_lshl_add_u32 v4, v6, 2, s0
	v_dual_mov_b32 v2, 0 :: v_dual_mov_b32 v7, 0
	s_mov_b32 s2, exec_lo
	ds_load_b32 v5, v4 offset:1024
	v_cmpx_lt_i32_e32 0, v0
	s_cbranch_execnz .LBB21_47
; %bb.43:
	s_or_b32 exec_lo, exec_lo, s2
	s_delay_alu instid0(SALU_CYCLE_1)
	s_mov_b32 s2, exec_lo
	v_cmpx_lt_i32_e64 v2, v7
	s_cbranch_execnz .LBB21_48
.LBB21_44:
	s_or_b32 exec_lo, exec_lo, s2
	s_delay_alu instid0(SALU_CYCLE_1)
	s_mov_b32 s2, exec_lo
	v_cmpx_lt_i32_e64 v2, v7
	s_cbranch_execnz .LBB21_49
.LBB21_45:
	s_or_b32 exec_lo, exec_lo, s2
	s_delay_alu instid0(SALU_CYCLE_1)
	s_mov_b32 s2, exec_lo
	v_cmpx_lt_i32_e64 v2, v7
	s_cbranch_execnz .LBB21_50
.LBB21_46:
	s_or_b32 exec_lo, exec_lo, s2
	s_delay_alu instid0(SALU_CYCLE_1)
	s_mov_b32 s2, exec_lo
	v_cmpx_lt_i32_e64 v2, v7
	s_cbranch_execnz .LBB21_51
	s_branch .LBB21_54
.LBB21_47:
	v_mul_lo_u32 v2, 0x1ff, v0
	s_delay_alu instid0(VALU_DEP_1) | instskip(NEXT) | instid1(VALU_DEP_1)
	v_ashrrev_i32_e32 v7, 9, v2
	v_dual_lshlrev_b32 v2, 2, v7 :: v_dual_add_nc_u32 v8, 1, v7
	ds_load_b32 v2, v2 offset:19456
	s_wait_dscnt 0x0
	v_cmp_lt_i32_e32 vcc_lo, v2, v5
	v_cndmask_b32_e32 v2, 0, v8, vcc_lo
	v_cndmask_b32_e32 v7, v7, v0, vcc_lo
	s_or_b32 exec_lo, exec_lo, s2
	s_delay_alu instid0(SALU_CYCLE_1) | instskip(NEXT) | instid1(VALU_DEP_1)
	s_mov_b32 s2, exec_lo
	v_cmpx_lt_i32_e64 v2, v7
	s_cbranch_execz .LBB21_44
.LBB21_48:
	v_sub_nc_u32_e32 v8, v2, v7
	s_delay_alu instid0(VALU_DEP_1) | instskip(NEXT) | instid1(VALU_DEP_1)
	v_lshl_add_u32 v8, v7, 7, v8
	v_ashrrev_i32_e32 v8, 7, v8
	s_delay_alu instid0(VALU_DEP_1)
	v_dual_lshlrev_b32 v9, 2, v8 :: v_dual_add_nc_u32 v10, 1, v8
	ds_load_b32 v9, v9 offset:19456
	s_wait_dscnt 0x0
	v_cmp_lt_i32_e32 vcc_lo, v9, v5
	v_dual_cndmask_b32 v2, v2, v10 :: v_dual_cndmask_b32 v7, v8, v7
	s_or_b32 exec_lo, exec_lo, s2
	s_delay_alu instid0(SALU_CYCLE_1) | instskip(NEXT) | instid1(VALU_DEP_1)
	s_mov_b32 s2, exec_lo
	v_cmpx_lt_i32_e64 v2, v7
	s_cbranch_execz .LBB21_45
.LBB21_49:
	v_sub_nc_u32_e32 v8, v2, v7
	s_delay_alu instid0(VALU_DEP_1) | instskip(NEXT) | instid1(VALU_DEP_1)
	v_lshl_add_u32 v8, v7, 5, v8
	v_ashrrev_i32_e32 v8, 5, v8
	s_delay_alu instid0(VALU_DEP_1)
	v_dual_lshlrev_b32 v9, 2, v8 :: v_dual_add_nc_u32 v10, 1, v8
	ds_load_b32 v9, v9 offset:19456
	s_wait_dscnt 0x0
	v_cmp_lt_i32_e32 vcc_lo, v9, v5
	v_dual_cndmask_b32 v2, v2, v10 :: v_dual_cndmask_b32 v7, v8, v7
	s_or_b32 exec_lo, exec_lo, s2
	s_delay_alu instid0(SALU_CYCLE_1) | instskip(NEXT) | instid1(VALU_DEP_1)
	s_mov_b32 s2, exec_lo
	v_cmpx_lt_i32_e64 v2, v7
	s_cbranch_execz .LBB21_46
.LBB21_50:
	v_sub_nc_u32_e32 v8, v2, v7
	s_delay_alu instid0(VALU_DEP_1) | instskip(NEXT) | instid1(VALU_DEP_1)
	v_lshl_add_u32 v8, v7, 4, v8
	v_ashrrev_i32_e32 v8, 4, v8
	s_delay_alu instid0(VALU_DEP_1)
	v_dual_lshlrev_b32 v9, 2, v8 :: v_dual_add_nc_u32 v10, 1, v8
	ds_load_b32 v9, v9 offset:19456
	s_wait_dscnt 0x0
	v_cmp_lt_i32_e32 vcc_lo, v9, v5
	v_dual_cndmask_b32 v2, v2, v10 :: v_dual_cndmask_b32 v7, v8, v7
	s_or_b32 exec_lo, exec_lo, s2
	s_delay_alu instid0(SALU_CYCLE_1) | instskip(NEXT) | instid1(VALU_DEP_1)
	s_mov_b32 s2, exec_lo
	v_cmpx_lt_i32_e64 v2, v7
	s_cbranch_execz .LBB21_54
.LBB21_51:
	s_mov_b32 s3, 0
.LBB21_52:                              ; =>This Inner Loop Header: Depth=1
	v_sub_nc_u32_e32 v8, v2, v7
	s_delay_alu instid0(VALU_DEP_1) | instskip(NEXT) | instid1(VALU_DEP_1)
	v_lshl_add_u32 v8, v7, 1, v8
	v_ashrrev_i32_e32 v8, 1, v8
	s_delay_alu instid0(VALU_DEP_1) | instskip(SKIP_4) | instid1(VALU_DEP_1)
	v_dual_lshlrev_b32 v9, 2, v8 :: v_dual_add_nc_u32 v10, 1, v8
	ds_load_b32 v9, v9 offset:19456
	s_wait_dscnt 0x0
	v_cmp_lt_i32_e32 vcc_lo, v9, v5
	v_dual_cndmask_b32 v2, v2, v10 :: v_dual_cndmask_b32 v7, v8, v7
	v_cmp_ge_i32_e32 vcc_lo, v2, v7
	s_or_b32 s3, vcc_lo, s3
	s_delay_alu instid0(SALU_CYCLE_1)
	s_and_not1_b32 exec_lo, exec_lo, s3
	s_cbranch_execnz .LBB21_52
; %bb.53:
	s_or_b32 exec_lo, exec_lo, s3
.LBB21_54:
	s_delay_alu instid0(SALU_CYCLE_1)
	s_or_b32 exec_lo, exec_lo, s2
	v_dual_mov_b32 v7, 0 :: v_dual_mov_b32 v8, v6
	s_mov_b32 s2, exec_lo
	v_cmpx_lt_i32_e32 0, v6
	s_cbranch_execnz .LBB21_59
; %bb.55:
	s_or_b32 exec_lo, exec_lo, s2
	s_delay_alu instid0(SALU_CYCLE_1)
	s_mov_b32 s2, exec_lo
	v_cmpx_lt_i32_e64 v7, v8
	s_cbranch_execnz .LBB21_60
.LBB21_56:
	s_or_b32 exec_lo, exec_lo, s2
	s_delay_alu instid0(SALU_CYCLE_1)
	s_mov_b32 s2, exec_lo
	v_cmpx_lt_i32_e64 v7, v8
	s_cbranch_execnz .LBB21_61
.LBB21_57:
	s_or_b32 exec_lo, exec_lo, s2
	s_delay_alu instid0(SALU_CYCLE_1)
	s_mov_b32 s2, exec_lo
	v_cmpx_lt_i32_e64 v7, v8
	s_cbranch_execnz .LBB21_62
.LBB21_58:
	s_or_b32 exec_lo, exec_lo, s2
	s_delay_alu instid0(SALU_CYCLE_1)
	s_mov_b32 s2, exec_lo
	v_cmpx_lt_i32_e64 v7, v8
	s_cbranch_execnz .LBB21_63
	s_branch .LBB21_66
.LBB21_59:
	v_mul_lo_u32 v7, 0x1ff, v6
	s_delay_alu instid0(VALU_DEP_1) | instskip(NEXT) | instid1(VALU_DEP_1)
	v_lshrrev_b32_e32 v8, 9, v7
	v_lshl_add_u32 v7, v8, 2, s0
	ds_load_b32 v7, v7 offset:1024
	s_wait_dscnt 0x0
	v_cmp_lt_i32_e32 vcc_lo, v7, v5
	v_add_nc_u32_e32 v9, 1, v8
	s_delay_alu instid0(VALU_DEP_1) | instskip(SKIP_1) | instid1(SALU_CYCLE_1)
	v_dual_cndmask_b32 v7, 0, v9 :: v_dual_cndmask_b32 v8, v8, v6
	s_or_b32 exec_lo, exec_lo, s2
	s_mov_b32 s2, exec_lo
	s_delay_alu instid0(VALU_DEP_1)
	v_cmpx_lt_i32_e64 v7, v8
	s_cbranch_execz .LBB21_56
.LBB21_60:
	v_sub_nc_u32_e32 v9, v7, v8
	s_delay_alu instid0(VALU_DEP_1) | instskip(NEXT) | instid1(VALU_DEP_1)
	v_lshl_add_u32 v9, v8, 7, v9
	v_ashrrev_i32_e32 v9, 7, v9
	s_delay_alu instid0(VALU_DEP_1) | instskip(SKIP_4) | instid1(VALU_DEP_1)
	v_lshl_add_u32 v10, v9, 2, s0
	ds_load_b32 v10, v10 offset:1024
	s_wait_dscnt 0x0
	v_cmp_lt_i32_e32 vcc_lo, v10, v5
	v_dual_cndmask_b32 v8, v9, v8 :: v_dual_add_nc_u32 v11, 1, v9
	v_cndmask_b32_e32 v7, v7, v11, vcc_lo
	s_or_b32 exec_lo, exec_lo, s2
	s_delay_alu instid0(SALU_CYCLE_1) | instskip(NEXT) | instid1(VALU_DEP_1)
	s_mov_b32 s2, exec_lo
	v_cmpx_lt_i32_e64 v7, v8
	s_cbranch_execz .LBB21_57
.LBB21_61:
	v_sub_nc_u32_e32 v9, v7, v8
	s_delay_alu instid0(VALU_DEP_1) | instskip(NEXT) | instid1(VALU_DEP_1)
	v_lshl_add_u32 v9, v8, 5, v9
	v_ashrrev_i32_e32 v9, 5, v9
	s_delay_alu instid0(VALU_DEP_1) | instskip(SKIP_4) | instid1(VALU_DEP_1)
	v_lshl_add_u32 v10, v9, 2, s0
	ds_load_b32 v10, v10 offset:1024
	s_wait_dscnt 0x0
	v_cmp_lt_i32_e32 vcc_lo, v10, v5
	v_dual_cndmask_b32 v8, v9, v8 :: v_dual_add_nc_u32 v11, 1, v9
	v_cndmask_b32_e32 v7, v7, v11, vcc_lo
	s_or_b32 exec_lo, exec_lo, s2
	s_delay_alu instid0(SALU_CYCLE_1) | instskip(NEXT) | instid1(VALU_DEP_1)
	s_mov_b32 s2, exec_lo
	v_cmpx_lt_i32_e64 v7, v8
	s_cbranch_execz .LBB21_58
.LBB21_62:
	v_sub_nc_u32_e32 v9, v7, v8
	s_delay_alu instid0(VALU_DEP_1) | instskip(NEXT) | instid1(VALU_DEP_1)
	v_lshl_add_u32 v9, v8, 4, v9
	v_ashrrev_i32_e32 v9, 4, v9
	s_delay_alu instid0(VALU_DEP_1) | instskip(SKIP_4) | instid1(VALU_DEP_1)
	v_lshl_add_u32 v10, v9, 2, s0
	ds_load_b32 v10, v10 offset:1024
	s_wait_dscnt 0x0
	v_cmp_lt_i32_e32 vcc_lo, v10, v5
	v_dual_cndmask_b32 v8, v9, v8 :: v_dual_add_nc_u32 v11, 1, v9
	v_cndmask_b32_e32 v7, v7, v11, vcc_lo
	s_or_b32 exec_lo, exec_lo, s2
	s_delay_alu instid0(SALU_CYCLE_1) | instskip(NEXT) | instid1(VALU_DEP_1)
	s_mov_b32 s2, exec_lo
	v_cmpx_lt_i32_e64 v7, v8
	s_cbranch_execz .LBB21_66
.LBB21_63:
	s_mov_b32 s3, 0
.LBB21_64:                              ; =>This Inner Loop Header: Depth=1
	v_sub_nc_u32_e32 v9, v7, v8
	s_delay_alu instid0(VALU_DEP_1) | instskip(NEXT) | instid1(VALU_DEP_1)
	v_lshl_add_u32 v9, v8, 1, v9
	v_ashrrev_i32_e32 v9, 1, v9
	s_delay_alu instid0(VALU_DEP_1) | instskip(SKIP_4) | instid1(VALU_DEP_1)
	v_lshl_add_u32 v10, v9, 2, s0
	ds_load_b32 v10, v10 offset:1024
	s_wait_dscnt 0x0
	v_cmp_lt_i32_e32 vcc_lo, v10, v5
	v_dual_cndmask_b32 v8, v9, v8 :: v_dual_add_nc_u32 v11, 1, v9
	v_cndmask_b32_e32 v7, v7, v11, vcc_lo
	s_delay_alu instid0(VALU_DEP_1) | instskip(SKIP_1) | instid1(SALU_CYCLE_1)
	v_cmp_ge_i32_e32 vcc_lo, v7, v8
	s_or_b32 s3, vcc_lo, s3
	s_and_not1_b32 exec_lo, exec_lo, s3
	s_cbranch_execnz .LBB21_64
; %bb.65:
	s_or_b32 exec_lo, exec_lo, s3
.LBB21_66:
	s_delay_alu instid0(SALU_CYCLE_1) | instskip(SKIP_2) | instid1(VALU_DEP_1)
	s_or_b32 exec_lo, exec_lo, s2
	v_dual_sub_nc_u32 v0, v0, v2 :: v_dual_sub_nc_u32 v9, v6, v7
	s_mov_b32 s0, exec_lo
	v_add_nc_u32_e32 v8, v9, v0
	s_delay_alu instid0(VALU_DEP_1) | instskip(NEXT) | instid1(VALU_DEP_1)
	v_ashrrev_i32_e32 v0, 1, v8
	v_max_i32_e32 v0, v0, v9
	s_delay_alu instid0(VALU_DEP_1) | instskip(NEXT) | instid1(VALU_DEP_1)
	v_add_nc_u32_e32 v7, v7, v0
	v_add_min_i32_e64 v7, v7, 1, v26
	s_delay_alu instid0(VALU_DEP_1) | instskip(NEXT) | instid1(VALU_DEP_1)
	v_dual_mov_b32 v6, 0 :: v_dual_sub_nc_u32 v7, v7, v6
	v_cmpx_lt_i32_e32 0, v7
	s_cbranch_execz .LBB21_70
; %bb.67:
	v_mov_b32_e32 v6, 0
	s_mov_b32 s2, 0
.LBB21_68:                              ; =>This Inner Loop Header: Depth=1
	s_delay_alu instid0(VALU_DEP_1) | instskip(NEXT) | instid1(VALU_DEP_1)
	v_add_nc_u32_e32 v10, v6, v7
	v_lshrrev_b32_e32 v10, 1, v10
	s_delay_alu instid0(VALU_DEP_1) | instskip(SKIP_4) | instid1(VALU_DEP_1)
	v_lshl_add_u32 v11, v10, 2, v4
	ds_load_b32 v11, v11 offset:1024
	s_wait_dscnt 0x0
	v_cmp_lt_i32_e32 vcc_lo, v5, v11
	v_dual_cndmask_b32 v7, v7, v10 :: v_dual_add_nc_u32 v12, 1, v10
	v_cndmask_b32_e32 v6, v12, v6, vcc_lo
	s_delay_alu instid0(VALU_DEP_1) | instskip(SKIP_1) | instid1(SALU_CYCLE_1)
	v_cmp_ge_i32_e32 vcc_lo, v6, v7
	s_or_b32 s2, vcc_lo, s2
	s_and_not1_b32 exec_lo, exec_lo, s2
	s_cbranch_execnz .LBB21_68
; %bb.69:
	s_or_b32 exec_lo, exec_lo, s2
.LBB21_70:
	s_delay_alu instid0(SALU_CYCLE_1) | instskip(NEXT) | instid1(VALU_DEP_2)
	s_or_b32 exec_lo, exec_lo, s0
	v_add_nc_u32_e32 v4, v6, v9
	s_wait_dscnt 0x0
	s_delay_alu instid0(VALU_DEP_1) | instskip(SKIP_1) | instid1(VALU_DEP_2)
	v_min_i32_e32 v5, v4, v0
	v_cmp_lt_i32_e32 vcc_lo, v0, v4
	v_dual_sub_nc_u32 v6, v8, v5 :: v_dual_add_nc_u32 v5, 1, v5
	s_delay_alu instid0(VALU_DEP_1) | instskip(NEXT) | instid1(VALU_DEP_2)
	v_add_nc_u32_e32 v0, v6, v2
	v_cmp_eq_u32_e64 s0, v6, v5
	s_and_b32 s0, vcc_lo, s0
	s_delay_alu instid0(SALU_CYCLE_1)
	v_cndmask_b32_e64 v4, 0, 1, s0
.LBB21_71:
	s_or_b32 exec_lo, exec_lo, s1
	s_lshl_b32 s0, s31, 16
	s_delay_alu instid0(VALU_DEP_1) | instid1(SALU_CYCLE_1)
	v_dual_add_nc_u32 v1, v4, v1 :: v_dual_bitop2_b32 v2, s0, v26 bitop3:0x54
	v_sub_co_u32 v5, s0, v16, 1
	s_delay_alu instid0(VALU_DEP_2) | instskip(NEXT) | instid1(VALU_DEP_1)
	v_sub_nc_u32_e32 v6, v1, v0
	v_lshl_or_b32 v4, v0, 16, v6
	s_delay_alu instid0(VALU_DEP_1) | instskip(NEXT) | instid1(VALU_DEP_4)
	v_cndmask_b32_e64 v7, v4, v2, s0
	v_cndmask_b32_e64 v4, v5, 0xff, s0
	v_dual_add_nc_u32 v2, s31, v6 :: v_dual_lshlrev_b32 v5, 2, v0
	s_delay_alu instid0(VALU_DEP_1)
	v_dual_lshlrev_b32 v8, 2, v4 :: v_dual_lshlrev_b32 v4, 2, v2
	ds_store_b32 v8, v7 offset:18432
	s_wait_dscnt 0x0
	s_barrier_signal -1
	s_barrier_wait -1
	ds_load_b32 v7, v3
	ds_load_b32 v29, v5 offset:19456
	ds_load_b32 v30, v4 offset:19456
	s_wait_dscnt 0x2
	v_ashrrev_i32_e32 v27, 16, v7
	v_and_b32_e32 v3, 0xffff, v7
	s_wait_dscnt 0x0
	v_cmp_lt_i32_e32 vcc_lo, v30, v29
	v_mov_b32_e32 v31, v29
	v_cmp_le_i32_e64 s3, v27, v0
	v_cndmask_b32_e64 v7, 0, 1, vcc_lo
	v_cmp_le_i32_e32 vcc_lo, v3, v6
	s_delay_alu instid0(VALU_DEP_3)
	v_cndmask_b32_e64 v6, 0, 1, s3
	s_or_b32 s2, s3, vcc_lo
	s_delay_alu instid0(VALU_DEP_1) | instid1(SALU_CYCLE_1)
	v_cndmask_b32_e64 v6, v7, v6, s2
	s_delay_alu instid0(VALU_DEP_1) | instskip(NEXT) | instid1(VALU_DEP_1)
	v_and_b32_e32 v6, 1, v6
	v_cmp_eq_u32_e64 s1, 1, v6
	s_xor_b32 s5, s1, -1
	s_delay_alu instid0(SALU_CYCLE_1)
	s_and_saveexec_b32 s4, s5
; %bb.72:
	v_add_nc_u32_e32 v5, 0x4800, v5
	v_add_nc_u32_e32 v0, 1, v0
	ds_load_b32 v31, v5 offset:1028
; %bb.73:
	s_or_b32 exec_lo, exec_lo, s4
	s_xor_b32 s4, s3, -1
	v_cmp_lt_i32_e64 s3, v29, v30
	v_mov_b32_e32 v32, v30
	s_delay_alu instid0(VALU_DEP_2) | instskip(SKIP_1) | instid1(SALU_CYCLE_1)
	v_cndmask_b32_e64 v5, 0, 1, s3
	s_and_b32 s3, vcc_lo, s4
	v_cndmask_b32_e64 v6, 0, 1, s3
	s_delay_alu instid0(VALU_DEP_1) | instskip(NEXT) | instid1(VALU_DEP_1)
	v_cndmask_b32_e64 v5, v5, v6, s2
	v_and_b32_e32 v5, 1, v5
	s_delay_alu instid0(VALU_DEP_1) | instskip(SKIP_1) | instid1(SALU_CYCLE_1)
	v_cmp_eq_u32_e32 vcc_lo, 1, v5
	s_xor_b32 s3, vcc_lo, -1
	s_and_saveexec_b32 s2, s3
; %bb.74:
	v_add_nc_u32_e32 v4, 0x4800, v4
	v_add_nc_u32_e32 v2, 1, v2
	ds_load_b32 v32, v4 offset:1028
; %bb.75:
	s_or_b32 exec_lo, exec_lo, s2
	s_wait_dscnt 0x0
	v_cmp_lt_i32_e64 s2, v32, v31
	v_cmp_ge_i32_e32 vcc_lo, v0, v27
	v_mov_b32_e32 v33, v31
	s_delay_alu instid0(VALU_DEP_3) | instskip(SKIP_2) | instid1(VALU_DEP_2)
	v_cndmask_b32_e64 v4, 0, 1, s2
	v_add_nc_u32_e32 v28, s31, v3
	v_cndmask_b32_e64 v3, 0, 1, vcc_lo
	v_cmp_ge_i32_e64 s3, v2, v28
	s_or_b32 s2, vcc_lo, s3
	s_delay_alu instid0(SALU_CYCLE_1) | instskip(NEXT) | instid1(VALU_DEP_1)
	v_cndmask_b32_e64 v3, v4, v3, s2
	v_and_b32_e32 v3, 1, v3
	s_delay_alu instid0(VALU_DEP_1) | instskip(SKIP_2) | instid1(SALU_CYCLE_1)
	v_cmp_eq_u32_e64 s2, 1, v3
	v_mov_b32_e32 v3, v0
	s_xor_b32 s5, s2, -1
	s_and_saveexec_b32 s4, s5
; %bb.76:
	v_lshlrev_b32_e32 v3, 2, v0
	ds_load_b32 v33, v3 offset:19460
	v_add_nc_u32_e32 v3, 1, v0
; %bb.77:
	s_or_b32 exec_lo, exec_lo, s4
	v_cmp_lt_i32_e64 s4, v31, v32
	s_xor_b32 s5, vcc_lo, -1
	v_dual_mov_b32 v34, v32 :: v_dual_mov_b32 v4, v2
	s_or_b32 s3, s3, s4
	s_delay_alu instid0(SALU_CYCLE_1) | instskip(NEXT) | instid1(SALU_CYCLE_1)
	s_and_b32 s3, s5, s3
	s_xor_b32 s4, s3, -1
	s_delay_alu instid0(SALU_CYCLE_1)
	s_and_saveexec_b32 s3, s4
; %bb.78:
	v_lshlrev_b32_e32 v4, 2, v2
	ds_load_b32 v34, v4 offset:19460
	v_add_nc_u32_e32 v4, 1, v2
; %bb.79:
	s_or_b32 exec_lo, exec_lo, s3
	v_cmp_ge_i32_e64 s4, v3, v27
	s_wait_dscnt 0x0
	v_cmp_lt_i32_e64 s3, v34, v33
	v_cmp_ge_i32_e32 vcc_lo, v4, v28
	v_mov_b32_e32 v35, v33
	v_cndmask_b32_e64 v5, 0, 1, s4
	s_delay_alu instid0(VALU_DEP_4)
	v_cndmask_b32_e64 v6, 0, 1, s3
	s_or_b32 s3, s4, vcc_lo
	s_delay_alu instid0(VALU_DEP_1) | instid1(SALU_CYCLE_1)
	v_cndmask_b32_e64 v5, v6, v5, s3
	s_delay_alu instid0(VALU_DEP_1) | instskip(NEXT) | instid1(VALU_DEP_1)
	v_and_b32_e32 v5, 1, v5
	v_cmp_eq_u32_e64 s3, 1, v5
	v_mov_b32_e32 v5, v3
	s_xor_b32 s6, s3, -1
	s_delay_alu instid0(SALU_CYCLE_1)
	s_and_saveexec_b32 s5, s6
; %bb.80:
	v_lshlrev_b32_e32 v5, 2, v3
	ds_load_b32 v35, v5 offset:19460
	v_add_nc_u32_e32 v5, 1, v3
; %bb.81:
	s_or_b32 exec_lo, exec_lo, s5
	v_cmp_lt_i32_e64 s5, v33, v34
	s_xor_b32 s4, s4, -1
	v_dual_mov_b32 v36, v34 :: v_dual_mov_b32 v6, v4
	s_or_b32 s5, vcc_lo, s5
	s_delay_alu instid0(SALU_CYCLE_1) | instskip(NEXT) | instid1(SALU_CYCLE_1)
	s_and_b32 s4, s4, s5
	s_xor_b32 s5, s4, -1
	s_delay_alu instid0(SALU_CYCLE_1)
	s_and_saveexec_b32 s4, s5
; %bb.82:
	v_lshlrev_b32_e32 v6, 2, v4
	ds_load_b32 v36, v6 offset:19460
	v_add_nc_u32_e32 v6, 1, v4
; %bb.83:
	s_or_b32 exec_lo, exec_lo, s4
	v_cmp_ge_i32_e64 s5, v5, v27
	s_wait_dscnt 0x0
	v_cmp_lt_i32_e64 s4, v36, v35
	v_cmp_ge_i32_e32 vcc_lo, v6, v28
	v_mov_b32_e32 v37, v35
	v_cndmask_b32_e64 v7, 0, 1, s5
	s_delay_alu instid0(VALU_DEP_4)
	v_cndmask_b32_e64 v8, 0, 1, s4
	s_or_b32 s4, s5, vcc_lo
	s_delay_alu instid0(VALU_DEP_1) | instid1(SALU_CYCLE_1)
	v_cndmask_b32_e64 v7, v8, v7, s4
	s_delay_alu instid0(VALU_DEP_1) | instskip(NEXT) | instid1(VALU_DEP_1)
	v_and_b32_e32 v7, 1, v7
	v_cmp_eq_u32_e64 s4, 1, v7
	v_mov_b32_e32 v7, v5
	s_xor_b32 s7, s4, -1
	s_delay_alu instid0(SALU_CYCLE_1)
	s_and_saveexec_b32 s6, s7
; %bb.84:
	v_lshlrev_b32_e32 v7, 2, v5
	ds_load_b32 v37, v7 offset:19460
	v_add_nc_u32_e32 v7, 1, v5
; %bb.85:
	s_or_b32 exec_lo, exec_lo, s6
	v_cmp_lt_i32_e64 s6, v35, v36
	s_xor_b32 s5, s5, -1
	v_dual_mov_b32 v38, v36 :: v_dual_mov_b32 v8, v6
	s_or_b32 s6, vcc_lo, s6
	;; [unrolled: 39-line block ×5, first 2 shown]
	s_delay_alu instid0(SALU_CYCLE_1) | instskip(NEXT) | instid1(SALU_CYCLE_1)
	s_and_b32 s8, s8, s9
	s_xor_b32 s9, s8, -1
	s_delay_alu instid0(SALU_CYCLE_1)
	s_and_saveexec_b32 s8, s9
; %bb.98:
	v_dual_lshlrev_b32 v14, 2, v12 :: v_dual_add_nc_u32 v15, 1, v12
	ds_load_b32 v44, v14 offset:19460
; %bb.99:
	s_or_b32 exec_lo, exec_lo, s8
	v_cmp_ge_i32_e64 s9, v13, v27
	s_wait_dscnt 0x0
	v_cmp_lt_i32_e64 s8, v44, v43
	v_cmp_ge_i32_e32 vcc_lo, v15, v28
	v_mov_b32_e32 v45, v43
	v_cndmask_b32_e64 v14, 0, 1, s9
	s_delay_alu instid0(VALU_DEP_4)
	v_cndmask_b32_e64 v22, 0, 1, s8
	s_or_b32 s8, s9, vcc_lo
	s_delay_alu instid0(VALU_DEP_1) | instid1(SALU_CYCLE_1)
	v_cndmask_b32_e64 v14, v22, v14, s8
	s_delay_alu instid0(VALU_DEP_1) | instskip(NEXT) | instid1(VALU_DEP_1)
	v_and_b32_e32 v14, 1, v14
	v_cmp_eq_u32_e64 s8, 1, v14
	v_mov_b32_e32 v14, v13
	s_xor_b32 s11, s8, -1
	s_delay_alu instid0(SALU_CYCLE_1)
	s_and_saveexec_b32 s10, s11
; %bb.100:
	v_lshlrev_b32_e32 v14, 2, v13
	ds_load_b32 v45, v14 offset:19460
	v_add_nc_u32_e32 v14, 1, v13
; %bb.101:
	s_or_b32 exec_lo, exec_lo, s10
	v_cmp_lt_i32_e64 s10, v43, v44
	s_xor_b32 s9, s9, -1
	v_dual_mov_b32 v46, v44 :: v_dual_mov_b32 v22, v15
	s_or_b32 s10, vcc_lo, s10
	s_delay_alu instid0(SALU_CYCLE_1) | instskip(NEXT) | instid1(SALU_CYCLE_1)
	s_and_b32 s9, s9, s10
	s_xor_b32 s10, s9, -1
	s_delay_alu instid0(SALU_CYCLE_1)
	s_and_saveexec_b32 s9, s10
; %bb.102:
	v_lshlrev_b32_e32 v22, 2, v15
	ds_load_b32 v46, v22 offset:19460
	v_add_nc_u32_e32 v22, 1, v15
; %bb.103:
	s_or_b32 exec_lo, exec_lo, s9
	v_cmp_ge_i32_e64 s10, v14, v27
	s_wait_dscnt 0x0
	v_cmp_lt_i32_e64 s9, v46, v45
	v_cmp_ge_i32_e32 vcc_lo, v22, v28
	v_mov_b32_e32 v47, v45
	v_cndmask_b32_e64 v23, 0, 1, s10
	s_delay_alu instid0(VALU_DEP_4)
	v_cndmask_b32_e64 v24, 0, 1, s9
	s_or_b32 s9, s10, vcc_lo
	s_delay_alu instid0(VALU_DEP_1) | instid1(SALU_CYCLE_1)
	v_cndmask_b32_e64 v23, v24, v23, s9
	s_delay_alu instid0(VALU_DEP_1) | instskip(NEXT) | instid1(VALU_DEP_1)
	v_and_b32_e32 v23, 1, v23
	v_cmp_eq_u32_e64 s9, 1, v23
	v_mov_b32_e32 v23, v14
	s_xor_b32 s12, s9, -1
	s_delay_alu instid0(SALU_CYCLE_1)
	s_and_saveexec_b32 s11, s12
; %bb.104:
	v_lshlrev_b32_e32 v23, 2, v14
	ds_load_b32 v47, v23 offset:19460
	v_add_nc_u32_e32 v23, 1, v14
; %bb.105:
	s_or_b32 exec_lo, exec_lo, s11
	v_cmp_lt_i32_e64 s11, v45, v46
	s_xor_b32 s10, s10, -1
	v_dual_mov_b32 v48, v46 :: v_dual_mov_b32 v24, v22
	s_or_b32 s11, vcc_lo, s11
	s_delay_alu instid0(SALU_CYCLE_1) | instskip(NEXT) | instid1(SALU_CYCLE_1)
	s_and_b32 s10, s10, s11
	s_xor_b32 s11, s10, -1
	s_delay_alu instid0(SALU_CYCLE_1)
	s_and_saveexec_b32 s10, s11
; %bb.106:
	v_lshlrev_b32_e32 v24, 2, v22
	ds_load_b32 v48, v24 offset:19460
	v_add_nc_u32_e32 v24, 1, v22
; %bb.107:
	s_or_b32 exec_lo, exec_lo, s10
	v_cmp_ge_i32_e64 s11, v23, v27
	s_wait_dscnt 0x0
	v_cmp_lt_i32_e64 s10, v48, v47
	v_cmp_ge_i32_e32 vcc_lo, v24, v28
	s_delay_alu instid0(VALU_DEP_3) | instskip(NEXT) | instid1(VALU_DEP_3)
	v_cndmask_b32_e64 v25, 0, 1, s11
	v_cndmask_b32_e64 v49, 0, 1, s10
	s_or_b32 s10, s11, vcc_lo
	s_delay_alu instid0(VALU_DEP_1) | instid1(SALU_CYCLE_1)
	v_dual_cndmask_b32 v25, v49, v25, s10 :: v_dual_mov_b32 v49, v47
	s_delay_alu instid0(VALU_DEP_1) | instskip(NEXT) | instid1(VALU_DEP_1)
	v_and_b32_e32 v25, 1, v25
	v_cmp_eq_u32_e64 s10, 1, v25
	v_mov_b32_e32 v25, v23
	s_xor_b32 s13, s10, -1
	s_delay_alu instid0(SALU_CYCLE_1)
	s_and_saveexec_b32 s12, s13
; %bb.108:
	v_lshlrev_b32_e32 v25, 2, v23
	ds_load_b32 v49, v25 offset:19460
	v_add_nc_u32_e32 v25, 1, v23
; %bb.109:
	s_or_b32 exec_lo, exec_lo, s12
	v_cmp_lt_i32_e64 s12, v47, v48
	s_xor_b32 s11, s11, -1
	v_dual_mov_b32 v50, v48 :: v_dual_mov_b32 v63, v24
	s_or_b32 s12, vcc_lo, s12
	s_delay_alu instid0(SALU_CYCLE_1) | instskip(NEXT) | instid1(SALU_CYCLE_1)
	s_and_b32 s11, s11, s12
	s_xor_b32 s12, s11, -1
	s_delay_alu instid0(SALU_CYCLE_1)
	s_and_saveexec_b32 s11, s12
; %bb.110:
	v_dual_lshlrev_b32 v50, 2, v24 :: v_dual_add_nc_u32 v63, 1, v24
	ds_load_b32 v50, v50 offset:19460
; %bb.111:
	s_or_b32 exec_lo, exec_lo, s11
	v_cmp_ge_i32_e64 s12, v25, v27
	s_wait_dscnt 0x0
	v_cmp_lt_i32_e64 s11, v50, v49
	v_cmp_ge_i32_e32 vcc_lo, v63, v28
	v_mov_b32_e32 v64, v25
	v_cndmask_b32_e64 v51, 0, 1, s12
	s_delay_alu instid0(VALU_DEP_4)
	v_cndmask_b32_e64 v52, 0, 1, s11
	s_or_b32 s11, s12, vcc_lo
	s_delay_alu instid0(VALU_DEP_1) | instid1(SALU_CYCLE_1)
	v_cndmask_b32_e64 v51, v52, v51, s11
	s_delay_alu instid0(VALU_DEP_1) | instskip(NEXT) | instid1(VALU_DEP_1)
	v_and_b32_e32 v51, 1, v51
	v_cmp_eq_u32_e64 s11, 1, v51
	v_mov_b32_e32 v51, v49
	s_xor_b32 s14, s11, -1
	s_delay_alu instid0(SALU_CYCLE_1)
	s_and_saveexec_b32 s13, s14
; %bb.112:
	v_dual_lshlrev_b32 v51, 2, v25 :: v_dual_add_nc_u32 v64, 1, v25
	ds_load_b32 v51, v51 offset:19460
; %bb.113:
	s_or_b32 exec_lo, exec_lo, s13
	v_cmp_lt_i32_e64 s13, v49, v50
	s_xor_b32 s12, s12, -1
	v_dual_mov_b32 v52, v50 :: v_dual_mov_b32 v65, v63
	s_or_b32 s13, vcc_lo, s13
	s_delay_alu instid0(SALU_CYCLE_1) | instskip(NEXT) | instid1(SALU_CYCLE_1)
	s_and_b32 s12, s12, s13
	s_xor_b32 s13, s12, -1
	s_delay_alu instid0(SALU_CYCLE_1)
	s_and_saveexec_b32 s12, s13
; %bb.114:
	v_dual_lshlrev_b32 v52, 2, v63 :: v_dual_add_nc_u32 v65, 1, v63
	ds_load_b32 v52, v52 offset:19460
; %bb.115:
	s_or_b32 exec_lo, exec_lo, s12
	v_cmp_ge_i32_e64 s13, v64, v27
	s_wait_dscnt 0x0
	v_cmp_lt_i32_e64 s12, v52, v51
	v_cmp_ge_i32_e32 vcc_lo, v65, v28
	v_mov_b32_e32 v66, v64
	v_cndmask_b32_e64 v53, 0, 1, s13
	s_delay_alu instid0(VALU_DEP_4)
	v_cndmask_b32_e64 v54, 0, 1, s12
	s_or_b32 s12, s13, vcc_lo
	s_delay_alu instid0(VALU_DEP_1) | instid1(SALU_CYCLE_1)
	v_cndmask_b32_e64 v53, v54, v53, s12
	s_delay_alu instid0(VALU_DEP_1) | instskip(NEXT) | instid1(VALU_DEP_1)
	v_and_b32_e32 v53, 1, v53
	v_cmp_eq_u32_e64 s12, 1, v53
	v_mov_b32_e32 v53, v51
	s_xor_b32 s15, s12, -1
	s_delay_alu instid0(SALU_CYCLE_1)
	s_and_saveexec_b32 s14, s15
; %bb.116:
	v_dual_lshlrev_b32 v53, 2, v64 :: v_dual_add_nc_u32 v66, 1, v64
	ds_load_b32 v53, v53 offset:19460
	;; [unrolled: 37-line block ×4, first 2 shown]
; %bb.125:
	s_or_b32 exec_lo, exec_lo, s16
	v_cmp_lt_i32_e64 s16, v55, v56
	s_xor_b32 s15, s15, -1
	v_dual_mov_b32 v58, v56 :: v_dual_mov_b32 v71, v69
	s_or_b32 s16, vcc_lo, s16
	s_delay_alu instid0(SALU_CYCLE_1) | instskip(NEXT) | instid1(SALU_CYCLE_1)
	s_and_b32 s15, s15, s16
	s_xor_b32 s16, s15, -1
	s_delay_alu instid0(SALU_CYCLE_1)
	s_and_saveexec_b32 s15, s16
; %bb.126:
	v_dual_lshlrev_b32 v58, 2, v69 :: v_dual_add_nc_u32 v71, 1, v69
	ds_load_b32 v58, v58 offset:19460
; %bb.127:
	s_or_b32 exec_lo, exec_lo, s15
	v_cmp_ge_i32_e64 s16, v70, v27
	s_wait_dscnt 0x0
	v_cmp_lt_i32_e64 s15, v58, v57
	v_cmp_ge_i32_e32 vcc_lo, v71, v28
	s_delay_alu instid0(VALU_DEP_3) | instskip(NEXT) | instid1(VALU_DEP_3)
	v_cndmask_b32_e64 v59, 0, 1, s16
	v_cndmask_b32_e64 v60, 0, 1, s15
	s_or_b32 s15, s16, vcc_lo
	s_delay_alu instid0(VALU_DEP_1) | instid1(SALU_CYCLE_1)
	v_dual_cndmask_b32 v59, v60, v59, s15 :: v_dual_mov_b32 v60, v70
	s_delay_alu instid0(VALU_DEP_1) | instskip(NEXT) | instid1(VALU_DEP_1)
	v_and_b32_e32 v59, 1, v59
	v_cmp_eq_u32_e64 s15, 1, v59
	v_mov_b32_e32 v59, v57
	s_xor_b32 s18, s15, -1
	s_delay_alu instid0(SALU_CYCLE_1)
	s_and_saveexec_b32 s17, s18
; %bb.128:
	v_dual_lshlrev_b32 v59, 2, v70 :: v_dual_add_nc_u32 v60, 1, v70
	ds_load_b32 v59, v59 offset:19460
; %bb.129:
	s_or_b32 exec_lo, exec_lo, s17
	v_cmp_lt_i32_e64 s17, v57, v58
	s_xor_b32 s16, s16, -1
	v_dual_mov_b32 v61, v58 :: v_dual_mov_b32 v62, v71
	s_or_b32 s17, vcc_lo, s17
	s_delay_alu instid0(SALU_CYCLE_1) | instskip(NEXT) | instid1(SALU_CYCLE_1)
	s_and_b32 s16, s16, s17
	s_xor_b32 s17, s16, -1
	s_delay_alu instid0(SALU_CYCLE_1)
	s_and_saveexec_b32 s16, s17
; %bb.130:
	v_dual_lshlrev_b32 v61, 2, v71 :: v_dual_add_nc_u32 v62, 1, v71
	ds_load_b32 v61, v61 offset:19460
; %bb.131:
	s_or_b32 exec_lo, exec_lo, s16
	v_dual_add_nc_u32 v72, v62, v60 :: v_dual_add_nc_u32 v73, v28, v27
	v_dual_add_nc_u32 v13, v15, v13 :: v_dual_add_nc_u32 v3, v4, v3
	;; [unrolled: 1-line block ×4, first 2 shown]
	v_add_nc_u32_e32 v2, v6, v5
	s_delay_alu instid0(VALU_DEP_4) | instskip(NEXT) | instid1(VALU_DEP_4)
	v_cmp_lt_i32_e64 s19, v3, v73
	v_cmp_lt_i32_e64 s20, v0, v73
	;; [unrolled: 1-line block ×3, first 2 shown]
	v_dual_add_nc_u32 v25, v63, v25 :: v_dual_add_nc_u32 v11, v12, v11
	s_delay_alu instid0(VALU_DEP_4) | instskip(NEXT) | instid1(VALU_DEP_4)
	v_cndmask_b32_e64 v3, 0, 4, s19
	v_cndmask_b32_e64 v0, 0, 2, s20
	s_delay_alu instid0(VALU_DEP_4)
	v_cndmask_b32_e64 v1, 0, 1, s21
	v_cmp_lt_i32_e64 s17, v4, v73
	v_cmp_lt_i32_e64 s18, v2, v73
	v_cmp_lt_i32_e32 vcc_lo, v11, v73
	v_cmp_lt_i32_e64 s16, v9, v73
	v_or3_b32 v0, v0, v1, v3
	v_cndmask_b32_e64 v4, 0, 16, s17
	v_cndmask_b32_e64 v2, 0, 8, s18
	v_cndmask_b32_e64 v1, 0, 64, vcc_lo
	v_cmp_lt_i32_e32 vcc_lo, v13, v73
	v_cndmask_b32_e64 v3, 0, 32, s16
	v_dual_add_nc_u32 v70, v71, v70 :: v_dual_add_nc_u32 v69, v69, v68
	v_or3_b32 v0, v0, v2, v4
	v_dual_add_nc_u32 v2, v24, v23 :: v_dual_add_nc_u32 v4, v22, v14
	v_cndmask_b32_e64 v5, 0, 0x80, vcc_lo
	v_dual_add_nc_u32 v71, v67, v66 :: v_dual_add_nc_u32 v64, v65, v64
	s_delay_alu instid0(VALU_DEP_3)
	v_cmp_lt_i32_e32 vcc_lo, v2, v73
	v_or3_b32 v68, v0, v3, v1
	v_mov_b32_e32 v9, 0
	s_cmp_lg_u32 s30, 0
	s_wait_dscnt 0x0
	v_cndmask_b32_e64 v0, 0, 0x200, vcc_lo
	v_cmp_lt_i32_e32 vcc_lo, v4, v73
	v_or_b32_e32 v67, v5, v68
	s_barrier_signal -1
	s_barrier_wait -1
	v_cndmask_b32_e64 v1, 0, 0x100, vcc_lo
	v_cmp_lt_i32_e32 vcc_lo, v64, v73
	s_delay_alu instid0(VALU_DEP_2) | instskip(SKIP_4) | instid1(VALU_DEP_2)
	v_or3_b32 v66, v1, v0, v67
	v_cndmask_b32_e64 v2, 0, 0x800, vcc_lo
	v_cmp_lt_i32_e32 vcc_lo, v25, v73
	v_cndmask_b32_e64 v3, 0, 0x400, vcc_lo
	v_cmp_lt_i32_e32 vcc_lo, v69, v73
	v_or3_b32 v65, v3, v2, v66
	v_cndmask_b32_e64 v0, 0, 0x2000, vcc_lo
	v_cmp_lt_i32_e32 vcc_lo, v71, v73
	v_cndmask_b32_e64 v1, 0, 0x1000, vcc_lo
	v_cmp_lt_i32_e32 vcc_lo, v72, v73
	s_delay_alu instid0(VALU_DEP_2) | instskip(SKIP_3) | instid1(VALU_DEP_1)
	v_or3_b32 v64, v1, v0, v65
	v_cndmask_b32_e64 v2, 0, 0x8000, vcc_lo
	v_cmp_lt_i32_e32 vcc_lo, v70, v73
	v_cndmask_b32_e64 v3, 0, 0x4000, vcc_lo
	v_or3_b32 v63, v3, v2, v64
	s_delay_alu instid0(VALU_DEP_1)
	v_bcnt_u32_b32 v8, v63, 0
	s_cbranch_scc0 .LBB21_188
; %bb.132:
	v_mbcnt_lo_u32_b32 v69, -1, 0
	s_delay_alu instid0(VALU_DEP_2) | instskip(SKIP_2) | instid1(VALU_DEP_4)
	v_mov_b64_e32 v[2:3], v[8:9]
	v_mov_b32_dpp v4, v8 row_shr:1 row_mask:0xf bank_mask:0xf
	v_mov_b32_dpp v7, v9 row_shr:1 row_mask:0xf bank_mask:0xf
	v_dual_mov_b32 v5, v9 :: v_dual_bitop2_b32 v10, 15, v69 bitop3:0x40
	v_mov_b32_e32 v0, v8
	s_mov_b32 s22, exec_lo
	s_delay_alu instid0(VALU_DEP_2)
	v_cmpx_ne_u32_e32 0, v10
; %bb.133:
	v_mov_b32_e32 v6, 0
	s_delay_alu instid0(VALU_DEP_1) | instskip(NEXT) | instid1(VALU_DEP_1)
	v_mov_b32_e32 v5, v6
	v_add_nc_u64_e32 v[0:1], v[4:5], v[8:9]
	s_delay_alu instid0(VALU_DEP_1) | instskip(NEXT) | instid1(VALU_DEP_1)
	v_add_nc_u64_e32 v[4:5], v[6:7], v[0:1]
	v_mov_b64_e32 v[2:3], v[4:5]
; %bb.134:
	s_or_b32 exec_lo, exec_lo, s22
	v_mov_b32_dpp v4, v0 row_shr:2 row_mask:0xf bank_mask:0xf
	v_mov_b32_dpp v7, v5 row_shr:2 row_mask:0xf bank_mask:0xf
	s_mov_b32 s22, exec_lo
	v_cmpx_lt_u32_e32 1, v10
; %bb.135:
	v_mov_b32_e32 v6, 0
	s_delay_alu instid0(VALU_DEP_1) | instskip(NEXT) | instid1(VALU_DEP_1)
	v_mov_b32_e32 v5, v6
	v_add_nc_u64_e32 v[0:1], v[2:3], v[4:5]
	s_delay_alu instid0(VALU_DEP_1) | instskip(NEXT) | instid1(VALU_DEP_1)
	v_add_nc_u64_e32 v[4:5], v[6:7], v[0:1]
	v_mov_b64_e32 v[2:3], v[4:5]
; %bb.136:
	s_or_b32 exec_lo, exec_lo, s22
	v_mov_b32_dpp v4, v0 row_shr:4 row_mask:0xf bank_mask:0xf
	v_mov_b32_dpp v7, v5 row_shr:4 row_mask:0xf bank_mask:0xf
	s_mov_b32 s22, exec_lo
	v_cmpx_lt_u32_e32 3, v10
; %bb.137:
	v_mov_b32_e32 v6, 0
	s_delay_alu instid0(VALU_DEP_1) | instskip(NEXT) | instid1(VALU_DEP_1)
	v_mov_b32_e32 v5, v6
	v_add_nc_u64_e32 v[0:1], v[2:3], v[4:5]
	s_delay_alu instid0(VALU_DEP_1) | instskip(NEXT) | instid1(VALU_DEP_1)
	v_add_nc_u64_e32 v[4:5], v[6:7], v[0:1]
	v_mov_b64_e32 v[2:3], v[4:5]
; %bb.138:
	s_or_b32 exec_lo, exec_lo, s22
	v_mov_b32_dpp v4, v0 row_shr:8 row_mask:0xf bank_mask:0xf
	v_mov_b32_dpp v7, v5 row_shr:8 row_mask:0xf bank_mask:0xf
	s_mov_b32 s22, exec_lo
	v_cmpx_lt_u32_e32 7, v10
; %bb.139:
	v_mov_b32_e32 v6, 0
	s_delay_alu instid0(VALU_DEP_1) | instskip(NEXT) | instid1(VALU_DEP_1)
	v_mov_b32_e32 v5, v6
	v_add_nc_u64_e32 v[0:1], v[2:3], v[4:5]
	s_delay_alu instid0(VALU_DEP_1) | instskip(NEXT) | instid1(VALU_DEP_1)
	v_add_nc_u64_e32 v[2:3], v[6:7], v[0:1]
	v_mov_b32_e32 v5, v3
; %bb.140:
	s_or_b32 exec_lo, exec_lo, s22
	ds_swizzle_b32 v4, v0 offset:swizzle(BROADCAST,32,15)
	ds_swizzle_b32 v7, v5 offset:swizzle(BROADCAST,32,15)
	v_and_b32_e32 v1, 16, v69
	s_mov_b32 s22, exec_lo
	s_delay_alu instid0(VALU_DEP_1)
	v_cmpx_ne_u32_e32 0, v1
	s_cbranch_execz .LBB21_142
; %bb.141:
	v_mov_b32_e32 v6, 0
	s_delay_alu instid0(VALU_DEP_1) | instskip(SKIP_1) | instid1(VALU_DEP_1)
	v_mov_b32_e32 v5, v6
	s_wait_dscnt 0x1
	v_add_nc_u64_e32 v[0:1], v[2:3], v[4:5]
	s_wait_dscnt 0x0
	s_delay_alu instid0(VALU_DEP_1)
	v_add_nc_u64_e32 v[2:3], v[6:7], v[0:1]
.LBB21_142:
	s_or_b32 exec_lo, exec_lo, s22
	v_and_b32_e32 v1, 0x3e0, v16
	s_wait_dscnt 0x1
	v_lshrrev_b32_e32 v4, 5, v16
	s_delay_alu instid0(VALU_DEP_2) | instskip(NEXT) | instid1(VALU_DEP_1)
	v_min_u32_e32 v1, 0xe0, v1
	v_or_b32_e32 v1, 31, v1
	s_delay_alu instid0(VALU_DEP_1) | instskip(NEXT) | instid1(VALU_DEP_4)
	v_cmp_eq_u32_e32 vcc_lo, v16, v1
	v_lshlrev_b32_e32 v1, 3, v4
	s_and_saveexec_b32 s22, vcc_lo
; %bb.143:
	ds_store_b64 v1, v[2:3] offset:18432
; %bb.144:
	s_or_b32 exec_lo, exec_lo, s22
	s_delay_alu instid0(SALU_CYCLE_1)
	s_mov_b32 s22, exec_lo
	s_wait_dscnt 0x0
	s_barrier_signal -1
	s_barrier_wait -1
	v_cmpx_gt_u32_e32 8, v16
	s_cbranch_execz .LBB21_152
; %bb.145:
	v_dual_lshlrev_b32 v13, 3, v16 :: v_dual_bitop2_b32 v12, 7, v69 bitop3:0x40
	s_mov_b32 s23, exec_lo
	ds_load_b64 v[2:3], v13 offset:18432
	s_wait_dscnt 0x0
	v_mov_b32_dpp v6, v2 row_shr:1 row_mask:0xf bank_mask:0xf
	v_mov_b32_dpp v11, v3 row_shr:1 row_mask:0xf bank_mask:0xf
	v_mov_b32_e32 v4, v2
	v_cmpx_ne_u32_e32 0, v12
; %bb.146:
	v_mov_b32_e32 v10, 0
	s_delay_alu instid0(VALU_DEP_1) | instskip(NEXT) | instid1(VALU_DEP_1)
	v_mov_b32_e32 v7, v10
	v_add_nc_u64_e32 v[4:5], v[2:3], v[6:7]
	s_delay_alu instid0(VALU_DEP_1)
	v_add_nc_u64_e32 v[2:3], v[10:11], v[4:5]
; %bb.147:
	s_or_b32 exec_lo, exec_lo, s23
	v_mov_b32_dpp v6, v4 row_shr:2 row_mask:0xf bank_mask:0xf
	s_delay_alu instid0(VALU_DEP_2)
	v_mov_b32_dpp v11, v3 row_shr:2 row_mask:0xf bank_mask:0xf
	s_mov_b32 s23, exec_lo
	v_cmpx_lt_u32_e32 1, v12
; %bb.148:
	v_mov_b32_e32 v10, 0
	s_delay_alu instid0(VALU_DEP_1) | instskip(NEXT) | instid1(VALU_DEP_1)
	v_mov_b32_e32 v7, v10
	v_add_nc_u64_e32 v[4:5], v[2:3], v[6:7]
	s_delay_alu instid0(VALU_DEP_1)
	v_add_nc_u64_e32 v[2:3], v[10:11], v[4:5]
; %bb.149:
	s_or_b32 exec_lo, exec_lo, s23
	v_add_nc_u32_e32 v10, 0x4800, v13
	v_mov_b32_dpp v4, v4 row_shr:4 row_mask:0xf bank_mask:0xf
	s_delay_alu instid0(VALU_DEP_3)
	v_mov_b32_dpp v7, v3 row_shr:4 row_mask:0xf bank_mask:0xf
	s_mov_b32 s23, exec_lo
	v_cmpx_lt_u32_e32 3, v12
; %bb.150:
	v_mov_b32_e32 v6, 0
	s_delay_alu instid0(VALU_DEP_1) | instskip(NEXT) | instid1(VALU_DEP_1)
	v_mov_b32_e32 v5, v6
	v_add_nc_u64_e32 v[2:3], v[2:3], v[4:5]
	s_delay_alu instid0(VALU_DEP_1)
	v_add_nc_u64_e32 v[2:3], v[2:3], v[6:7]
; %bb.151:
	s_or_b32 exec_lo, exec_lo, s23
	ds_store_b64 v10, v[2:3]
.LBB21_152:
	s_or_b32 exec_lo, exec_lo, s22
	s_delay_alu instid0(SALU_CYCLE_1)
	s_mov_b32 s23, exec_lo
	v_cmp_gt_u32_e32 vcc_lo, 32, v16
	s_wait_dscnt 0x0
	s_barrier_signal -1
	s_barrier_wait -1
                                        ; implicit-def: $vgpr10_vgpr11
	v_cmpx_lt_u32_e32 31, v16
	s_cbranch_execz .LBB21_154
; %bb.153:
	ds_load_b64 v[10:11], v1 offset:18424
	s_wait_dscnt 0x0
	v_add_nc_u32_e32 v0, v0, v10
.LBB21_154:
	s_or_b32 exec_lo, exec_lo, s23
	v_sub_co_u32 v1, s22, v69, 1
	s_delay_alu instid0(VALU_DEP_1) | instskip(NEXT) | instid1(VALU_DEP_1)
	v_cmp_gt_i32_e64 s23, 0, v1
	v_cndmask_b32_e64 v1, v1, v69, s23
	s_delay_alu instid0(VALU_DEP_1)
	v_lshlrev_b32_e32 v1, 2, v1
	ds_bpermute_b32 v70, v1, v0
	s_and_saveexec_b32 s23, vcc_lo
	s_cbranch_execz .LBB21_193
; %bb.155:
	v_mov_b32_e32 v3, 0
	ds_load_b64 v[0:1], v3 offset:18488
	s_and_saveexec_b32 s33, s22
	s_cbranch_execz .LBB21_157
; %bb.156:
	s_add_co_i32 s34, s30, 32
	s_mov_b32 s35, 0
	v_mov_b32_e32 v2, 1
	s_lshl_b64 s[34:35], s[34:35], 4
	s_delay_alu instid0(SALU_CYCLE_1) | instskip(NEXT) | instid1(SALU_CYCLE_1)
	s_add_nc_u64 s[34:35], s[28:29], s[34:35]
	v_mov_b64_e32 v[4:5], s[34:35]
	s_wait_dscnt 0x0
	;;#ASMSTART
	global_store_b128 v[4:5], v[0:3] off scope:SCOPE_DEV	
s_wait_storecnt 0x0
	;;#ASMEND
.LBB21_157:
	s_or_b32 exec_lo, exec_lo, s33
	v_xad_u32 v12, v69, -1, s30
	s_mov_b32 s34, 0
	s_mov_b32 s33, exec_lo
	s_delay_alu instid0(VALU_DEP_1) | instskip(NEXT) | instid1(VALU_DEP_1)
	v_add_nc_u32_e32 v2, 32, v12
	v_lshl_add_u64 v[2:3], v[2:3], 4, s[28:29]
	;;#ASMSTART
	global_load_b128 v[4:7], v[2:3] off scope:SCOPE_DEV	
s_wait_loadcnt 0x0
	;;#ASMEND
	v_and_b32_e32 v7, 0xff, v6
	s_delay_alu instid0(VALU_DEP_1)
	v_cmpx_eq_u16_e32 0, v7
	s_cbranch_execz .LBB21_160
.LBB21_158:                             ; =>This Inner Loop Header: Depth=1
	;;#ASMSTART
	global_load_b128 v[4:7], v[2:3] off scope:SCOPE_DEV	
s_wait_loadcnt 0x0
	;;#ASMEND
	v_and_b32_e32 v7, 0xff, v6
	s_delay_alu instid0(VALU_DEP_1) | instskip(SKIP_1) | instid1(SALU_CYCLE_1)
	v_cmp_ne_u16_e32 vcc_lo, 0, v7
	s_or_b32 s34, vcc_lo, s34
	s_and_not1_b32 exec_lo, exec_lo, s34
	s_cbranch_execnz .LBB21_158
; %bb.159:
	s_or_b32 exec_lo, exec_lo, s34
.LBB21_160:
	s_delay_alu instid0(SALU_CYCLE_1)
	s_or_b32 exec_lo, exec_lo, s33
	v_cmp_ne_u32_e32 vcc_lo, 31, v69
	v_and_b32_e32 v3, 0xff, v6
	v_lshlrev_b32_e64 v72, v69, -1
	s_mov_b32 s33, exec_lo
	v_add_co_ci_u32_e64 v2, null, 0, v69, vcc_lo
	s_delay_alu instid0(VALU_DEP_3) | instskip(NEXT) | instid1(VALU_DEP_2)
	v_cmp_eq_u16_e32 vcc_lo, 2, v3
	v_lshlrev_b32_e32 v71, 2, v2
	v_and_or_b32 v2, vcc_lo, v72, 0x80000000
	s_delay_alu instid0(VALU_DEP_1)
	v_ctz_i32_b32_e32 v7, v2
	v_mov_b32_e32 v2, v4
	ds_bpermute_b32 v14, v71, v4
	ds_bpermute_b32 v23, v71, v5
	v_cmpx_lt_u32_e64 v69, v7
	s_cbranch_execz .LBB21_162
; %bb.161:
	v_mov_b32_e32 v22, 0
	s_delay_alu instid0(VALU_DEP_1) | instskip(SKIP_1) | instid1(VALU_DEP_1)
	v_mov_b32_e32 v15, v22
	s_wait_dscnt 0x1
	v_add_nc_u64_e32 v[2:3], v[4:5], v[14:15]
	s_wait_dscnt 0x0
	s_delay_alu instid0(VALU_DEP_1)
	v_add_nc_u64_e32 v[4:5], v[22:23], v[2:3]
.LBB21_162:
	s_or_b32 exec_lo, exec_lo, s33
	v_cmp_gt_u32_e32 vcc_lo, 30, v69
	v_add_nc_u32_e32 v74, 2, v69
	s_mov_b32 s33, exec_lo
	v_cndmask_b32_e64 v3, 0, 2, vcc_lo
	s_delay_alu instid0(VALU_DEP_1)
	v_add_lshl_u32 v73, v3, v69, 2
	s_wait_dscnt 0x1
	ds_bpermute_b32 v14, v73, v2
	s_wait_dscnt 0x1
	ds_bpermute_b32 v23, v73, v5
	v_cmpx_le_u32_e64 v74, v7
	s_cbranch_execz .LBB21_164
; %bb.163:
	v_mov_b32_e32 v22, 0
	s_delay_alu instid0(VALU_DEP_1) | instskip(SKIP_1) | instid1(VALU_DEP_1)
	v_mov_b32_e32 v15, v22
	s_wait_dscnt 0x1
	v_add_nc_u64_e32 v[2:3], v[4:5], v[14:15]
	s_wait_dscnt 0x0
	s_delay_alu instid0(VALU_DEP_1)
	v_add_nc_u64_e32 v[4:5], v[22:23], v[2:3]
.LBB21_164:
	s_or_b32 exec_lo, exec_lo, s33
	v_cmp_gt_u32_e32 vcc_lo, 28, v69
	v_add_nc_u32_e32 v76, 4, v69
	s_mov_b32 s33, exec_lo
	v_cndmask_b32_e64 v3, 0, 4, vcc_lo
	s_delay_alu instid0(VALU_DEP_1)
	v_add_lshl_u32 v75, v3, v69, 2
	s_wait_dscnt 0x1
	ds_bpermute_b32 v14, v75, v2
	s_wait_dscnt 0x1
	ds_bpermute_b32 v23, v75, v5
	v_cmpx_le_u32_e64 v76, v7
	;; [unrolled: 23-line block ×3, first 2 shown]
	s_cbranch_execz .LBB21_168
; %bb.167:
	v_mov_b32_e32 v22, 0
	s_delay_alu instid0(VALU_DEP_1) | instskip(SKIP_1) | instid1(VALU_DEP_1)
	v_mov_b32_e32 v15, v22
	s_wait_dscnt 0x1
	v_add_nc_u64_e32 v[2:3], v[4:5], v[14:15]
	s_wait_dscnt 0x0
	s_delay_alu instid0(VALU_DEP_1)
	v_add_nc_u64_e32 v[4:5], v[22:23], v[2:3]
.LBB21_168:
	s_or_b32 exec_lo, exec_lo, s33
	v_lshl_or_b32 v79, v69, 2, 64
	v_add_nc_u32_e32 v80, 16, v69
	s_mov_b32 s33, exec_lo
	ds_bpermute_b32 v2, v79, v2
	ds_bpermute_b32 v15, v79, v5
	v_cmpx_le_u32_e64 v80, v7
	s_cbranch_execz .LBB21_170
; %bb.169:
	s_wait_dscnt 0x3
	v_mov_b32_e32 v14, 0
	s_delay_alu instid0(VALU_DEP_1) | instskip(SKIP_1) | instid1(VALU_DEP_1)
	v_mov_b32_e32 v3, v14
	s_wait_dscnt 0x1
	v_add_nc_u64_e32 v[2:3], v[4:5], v[2:3]
	s_wait_dscnt 0x0
	s_delay_alu instid0(VALU_DEP_1)
	v_add_nc_u64_e32 v[4:5], v[2:3], v[14:15]
.LBB21_170:
	s_or_b32 exec_lo, exec_lo, s33
	v_mov_b32_e32 v13, 0
	s_branch .LBB21_173
.LBB21_171:                             ;   in Loop: Header=BB21_173 Depth=1
	s_or_b32 exec_lo, exec_lo, s33
	s_delay_alu instid0(VALU_DEP_1)
	v_add_nc_u64_e32 v[4:5], v[4:5], v[2:3]
	v_subrev_nc_u32_e32 v12, 32, v12
	s_mov_b32 s33, 0
.LBB21_172:                             ;   in Loop: Header=BB21_173 Depth=1
	s_delay_alu instid0(SALU_CYCLE_1)
	s_and_b32 vcc_lo, exec_lo, s33
	s_cbranch_vccnz .LBB21_189
.LBB21_173:                             ; =>This Loop Header: Depth=1
                                        ;     Child Loop BB21_176 Depth 2
	s_wait_dscnt 0x1
	v_and_b32_e32 v2, 0xff, v6
	s_mov_b32 s33, -1
	s_delay_alu instid0(VALU_DEP_1)
	v_cmp_ne_u16_e32 vcc_lo, 2, v2
	v_mov_b64_e32 v[2:3], v[4:5]
                                        ; implicit-def: $vgpr4_vgpr5
	s_cmp_lg_u32 vcc_lo, exec_lo
	s_cbranch_scc1 .LBB21_172
; %bb.174:                              ;   in Loop: Header=BB21_173 Depth=1
	s_wait_dscnt 0x0
	v_lshl_add_u64 v[14:15], v[12:13], 4, s[28:29]
	;;#ASMSTART
	global_load_b128 v[4:7], v[14:15] off scope:SCOPE_DEV	
s_wait_loadcnt 0x0
	;;#ASMEND
	v_and_b32_e32 v7, 0xff, v6
	s_mov_b32 s33, exec_lo
	s_delay_alu instid0(VALU_DEP_1)
	v_cmpx_eq_u16_e32 0, v7
	s_cbranch_execz .LBB21_178
; %bb.175:                              ;   in Loop: Header=BB21_173 Depth=1
	s_mov_b32 s34, 0
.LBB21_176:                             ;   Parent Loop BB21_173 Depth=1
                                        ; =>  This Inner Loop Header: Depth=2
	;;#ASMSTART
	global_load_b128 v[4:7], v[14:15] off scope:SCOPE_DEV	
s_wait_loadcnt 0x0
	;;#ASMEND
	v_and_b32_e32 v7, 0xff, v6
	s_delay_alu instid0(VALU_DEP_1) | instskip(SKIP_1) | instid1(SALU_CYCLE_1)
	v_cmp_ne_u16_e32 vcc_lo, 0, v7
	s_or_b32 s34, vcc_lo, s34
	s_and_not1_b32 exec_lo, exec_lo, s34
	s_cbranch_execnz .LBB21_176
; %bb.177:                              ;   in Loop: Header=BB21_173 Depth=1
	s_or_b32 exec_lo, exec_lo, s34
.LBB21_178:                             ;   in Loop: Header=BB21_173 Depth=1
	s_delay_alu instid0(SALU_CYCLE_1)
	s_or_b32 exec_lo, exec_lo, s33
	v_and_b32_e32 v7, 0xff, v6
	ds_bpermute_b32 v22, v71, v4
	ds_bpermute_b32 v25, v71, v5
	v_mov_b32_e32 v14, v4
	s_mov_b32 s33, exec_lo
	v_cmp_eq_u16_e32 vcc_lo, 2, v7
	v_and_or_b32 v7, vcc_lo, v72, 0x80000000
	s_delay_alu instid0(VALU_DEP_1) | instskip(NEXT) | instid1(VALU_DEP_1)
	v_ctz_i32_b32_e32 v7, v7
	v_cmpx_lt_u32_e64 v69, v7
	s_cbranch_execz .LBB21_180
; %bb.179:                              ;   in Loop: Header=BB21_173 Depth=1
	v_dual_mov_b32 v23, v13 :: v_dual_mov_b32 v24, v13
	s_wait_dscnt 0x1
	s_delay_alu instid0(VALU_DEP_1) | instskip(SKIP_1) | instid1(VALU_DEP_1)
	v_add_nc_u64_e32 v[14:15], v[4:5], v[22:23]
	s_wait_dscnt 0x0
	v_add_nc_u64_e32 v[4:5], v[24:25], v[14:15]
.LBB21_180:                             ;   in Loop: Header=BB21_173 Depth=1
	s_or_b32 exec_lo, exec_lo, s33
	ds_bpermute_b32 v24, v73, v14
	ds_bpermute_b32 v23, v73, v5
	s_mov_b32 s33, exec_lo
	v_cmpx_le_u32_e64 v74, v7
	s_cbranch_execz .LBB21_182
; %bb.181:                              ;   in Loop: Header=BB21_173 Depth=1
	s_wait_dscnt 0x2
	v_dual_mov_b32 v25, v13 :: v_dual_mov_b32 v22, v13
	s_wait_dscnt 0x1
	s_delay_alu instid0(VALU_DEP_1) | instskip(SKIP_1) | instid1(VALU_DEP_1)
	v_add_nc_u64_e32 v[14:15], v[4:5], v[24:25]
	s_wait_dscnt 0x0
	v_add_nc_u64_e32 v[4:5], v[22:23], v[14:15]
.LBB21_182:                             ;   in Loop: Header=BB21_173 Depth=1
	s_or_b32 exec_lo, exec_lo, s33
	s_wait_dscnt 0x1
	ds_bpermute_b32 v24, v75, v14
	s_wait_dscnt 0x1
	ds_bpermute_b32 v23, v75, v5
	s_mov_b32 s33, exec_lo
	v_cmpx_le_u32_e64 v76, v7
	s_cbranch_execz .LBB21_184
; %bb.183:                              ;   in Loop: Header=BB21_173 Depth=1
	v_dual_mov_b32 v25, v13 :: v_dual_mov_b32 v22, v13
	s_wait_dscnt 0x1
	s_delay_alu instid0(VALU_DEP_1) | instskip(SKIP_1) | instid1(VALU_DEP_1)
	v_add_nc_u64_e32 v[14:15], v[4:5], v[24:25]
	s_wait_dscnt 0x0
	v_add_nc_u64_e32 v[4:5], v[22:23], v[14:15]
.LBB21_184:                             ;   in Loop: Header=BB21_173 Depth=1
	s_or_b32 exec_lo, exec_lo, s33
	s_wait_dscnt 0x1
	ds_bpermute_b32 v24, v77, v14
	s_wait_dscnt 0x1
	ds_bpermute_b32 v23, v77, v5
	s_mov_b32 s33, exec_lo
	v_cmpx_le_u32_e64 v78, v7
	s_cbranch_execz .LBB21_186
; %bb.185:                              ;   in Loop: Header=BB21_173 Depth=1
	v_dual_mov_b32 v25, v13 :: v_dual_mov_b32 v22, v13
	s_wait_dscnt 0x1
	s_delay_alu instid0(VALU_DEP_1) | instskip(SKIP_1) | instid1(VALU_DEP_1)
	v_add_nc_u64_e32 v[14:15], v[4:5], v[24:25]
	s_wait_dscnt 0x0
	v_add_nc_u64_e32 v[4:5], v[22:23], v[14:15]
.LBB21_186:                             ;   in Loop: Header=BB21_173 Depth=1
	s_or_b32 exec_lo, exec_lo, s33
	ds_bpermute_b32 v22, v79, v14
	ds_bpermute_b32 v15, v79, v5
	s_mov_b32 s33, exec_lo
	v_cmpx_le_u32_e64 v80, v7
	s_cbranch_execz .LBB21_171
; %bb.187:                              ;   in Loop: Header=BB21_173 Depth=1
	s_wait_dscnt 0x2
	v_dual_mov_b32 v23, v13 :: v_dual_mov_b32 v14, v13
	s_wait_dscnt 0x1
	s_delay_alu instid0(VALU_DEP_1) | instskip(SKIP_1) | instid1(VALU_DEP_1)
	v_add_nc_u64_e32 v[4:5], v[4:5], v[22:23]
	s_wait_dscnt 0x0
	v_add_nc_u64_e32 v[4:5], v[4:5], v[14:15]
	s_branch .LBB21_171
.LBB21_188:
                                        ; implicit-def: $vgpr0_vgpr1
                                        ; implicit-def: $vgpr4_vgpr5
	s_movk_i32 s22, 0x4840
	s_cbranch_execnz .LBB21_194
	s_branch .LBB21_217
.LBB21_189:
	s_and_saveexec_b32 s33, s22
	s_cbranch_execz .LBB21_191
; %bb.190:
	s_add_co_i32 s34, s30, 32
	s_mov_b32 s35, 0
	v_dual_mov_b32 v6, 2 :: v_dual_mov_b32 v7, 0
	s_lshl_b64 s[34:35], s[34:35], 4
	v_add_nc_u64_e32 v[4:5], v[2:3], v[0:1]
	s_add_nc_u64 s[34:35], s[28:29], s[34:35]
	s_delay_alu instid0(SALU_CYCLE_1)
	v_mov_b64_e32 v[12:13], s[34:35]
	;;#ASMSTART
	global_store_b128 v[12:13], v[4:7] off scope:SCOPE_DEV	
s_wait_storecnt 0x0
	;;#ASMEND
	ds_store_b128 v7, v[0:3] offset:18496
.LBB21_191:
	s_or_b32 exec_lo, exec_lo, s33
	s_delay_alu instid0(SALU_CYCLE_1)
	s_and_b32 exec_lo, exec_lo, s0
; %bb.192:
	v_mov_b32_e32 v0, 0
	ds_store_b64 v0, v[2:3] offset:18488
.LBB21_193:
	s_or_b32 exec_lo, exec_lo, s23
	v_dual_mov_b32 v0, 0 :: v_dual_cndmask_b32 v4, 0, v11, s22
	s_wait_dscnt 0x0
	s_barrier_signal -1
	s_barrier_wait -1
	ds_load_b64 v[2:3], v0 offset:18488
	s_wait_dscnt 0x0
	s_barrier_signal -1
	s_barrier_wait -1
	ds_load_b64 v[0:1], v0 offset:18504
	v_cndmask_b32_e64 v6, v70, v10, s22
	v_cndmask_b32_e64 v5, v4, 0, s0
	s_delay_alu instid0(VALU_DEP_2) | instskip(NEXT) | instid1(VALU_DEP_1)
	v_cndmask_b32_e64 v4, v6, 0, s0
	v_add_nc_u64_e32 v[4:5], v[2:3], v[4:5]
	s_movk_i32 s22, 0x4840
	s_branch .LBB21_217
.LBB21_194:
	v_mbcnt_lo_u32_b32 v10, -1, 0
	v_mov_b32_e32 v3, 0
	s_wait_dscnt 0x0
	v_mov_b64_e32 v[0:1], v[8:9]
	v_mov_b32_dpp v2, v8 row_shr:1 row_mask:0xf bank_mask:0xf
	s_mov_b32 s22, exec_lo
	v_and_b32_e32 v6, 15, v10
	v_mov_b32_dpp v5, v3 row_shr:1 row_mask:0xf bank_mask:0xf
	s_delay_alu instid0(VALU_DEP_2)
	v_cmpx_ne_u32_e32 0, v6
; %bb.195:
	v_mov_b32_e32 v4, 0
	s_delay_alu instid0(VALU_DEP_1) | instskip(NEXT) | instid1(VALU_DEP_1)
	v_mov_b32_e32 v3, v4
	v_add_nc_u64_e32 v[8:9], v[2:3], v[8:9]
	s_delay_alu instid0(VALU_DEP_1) | instskip(NEXT) | instid1(VALU_DEP_1)
	v_add_nc_u64_e32 v[2:3], v[4:5], v[8:9]
	v_mov_b64_e32 v[0:1], v[2:3]
; %bb.196:
	s_or_b32 exec_lo, exec_lo, s22
	v_mov_b32_dpp v2, v8 row_shr:2 row_mask:0xf bank_mask:0xf
	v_mov_b32_dpp v5, v3 row_shr:2 row_mask:0xf bank_mask:0xf
	s_mov_b32 s22, exec_lo
	v_cmpx_lt_u32_e32 1, v6
; %bb.197:
	v_mov_b32_e32 v4, 0
	s_delay_alu instid0(VALU_DEP_1) | instskip(NEXT) | instid1(VALU_DEP_1)
	v_mov_b32_e32 v3, v4
	v_add_nc_u64_e32 v[8:9], v[0:1], v[2:3]
	s_delay_alu instid0(VALU_DEP_1) | instskip(NEXT) | instid1(VALU_DEP_1)
	v_add_nc_u64_e32 v[2:3], v[4:5], v[8:9]
	v_mov_b64_e32 v[0:1], v[2:3]
; %bb.198:
	s_or_b32 exec_lo, exec_lo, s22
	v_mov_b32_dpp v2, v8 row_shr:4 row_mask:0xf bank_mask:0xf
	v_mov_b32_dpp v5, v3 row_shr:4 row_mask:0xf bank_mask:0xf
	s_mov_b32 s22, exec_lo
	v_cmpx_lt_u32_e32 3, v6
; %bb.199:
	v_mov_b32_e32 v4, 0
	s_delay_alu instid0(VALU_DEP_1) | instskip(NEXT) | instid1(VALU_DEP_1)
	v_mov_b32_e32 v3, v4
	v_add_nc_u64_e32 v[8:9], v[0:1], v[2:3]
	s_delay_alu instid0(VALU_DEP_1) | instskip(NEXT) | instid1(VALU_DEP_1)
	v_add_nc_u64_e32 v[2:3], v[4:5], v[8:9]
	v_mov_b64_e32 v[0:1], v[2:3]
; %bb.200:
	s_or_b32 exec_lo, exec_lo, s22
	v_mov_b32_dpp v2, v8 row_shr:8 row_mask:0xf bank_mask:0xf
	v_mov_b32_dpp v5, v3 row_shr:8 row_mask:0xf bank_mask:0xf
	s_mov_b32 s22, exec_lo
	v_cmpx_lt_u32_e32 7, v6
; %bb.201:
	v_mov_b32_e32 v4, 0
	s_delay_alu instid0(VALU_DEP_1) | instskip(NEXT) | instid1(VALU_DEP_1)
	v_mov_b32_e32 v3, v4
	v_add_nc_u64_e32 v[8:9], v[0:1], v[2:3]
	s_delay_alu instid0(VALU_DEP_1) | instskip(NEXT) | instid1(VALU_DEP_1)
	v_add_nc_u64_e32 v[0:1], v[4:5], v[8:9]
	v_mov_b32_e32 v3, v1
; %bb.202:
	s_or_b32 exec_lo, exec_lo, s22
	ds_swizzle_b32 v2, v8 offset:swizzle(BROADCAST,32,15)
	ds_swizzle_b32 v5, v3 offset:swizzle(BROADCAST,32,15)
	v_and_b32_e32 v3, 16, v10
	s_mov_b32 s22, exec_lo
	s_delay_alu instid0(VALU_DEP_1)
	v_cmpx_ne_u32_e32 0, v3
	s_cbranch_execz .LBB21_204
; %bb.203:
	v_mov_b32_e32 v4, 0
	s_delay_alu instid0(VALU_DEP_1) | instskip(SKIP_1) | instid1(VALU_DEP_1)
	v_mov_b32_e32 v3, v4
	s_wait_dscnt 0x1
	v_add_nc_u64_e32 v[8:9], v[0:1], v[2:3]
	s_wait_dscnt 0x0
	s_delay_alu instid0(VALU_DEP_1)
	v_add_nc_u64_e32 v[0:1], v[4:5], v[8:9]
.LBB21_204:
	s_or_b32 exec_lo, exec_lo, s22
	s_wait_dscnt 0x1
	v_and_b32_e32 v2, 0x3e0, v16
	s_mov_b32 s22, exec_lo
	v_lshrrev_b32_e32 v3, 5, v16
	s_delay_alu instid0(VALU_DEP_2) | instskip(NEXT) | instid1(VALU_DEP_1)
	v_min_u32_e32 v2, 0xe0, v2
	v_dual_lshlrev_b32 v9, 3, v3 :: v_dual_bitop2_b32 v2, 31, v2 bitop3:0x54
	s_delay_alu instid0(VALU_DEP_1)
	v_cmpx_eq_u32_e64 v16, v2
; %bb.205:
	ds_store_b64 v9, v[0:1] offset:18432
; %bb.206:
	s_or_b32 exec_lo, exec_lo, s22
	s_delay_alu instid0(SALU_CYCLE_1)
	s_mov_b32 s22, exec_lo
	s_wait_dscnt 0x0
	s_barrier_signal -1
	s_barrier_wait -1
	v_cmpx_gt_u32_e32 8, v16
	s_cbranch_execz .LBB21_214
; %bb.207:
	v_dual_lshlrev_b32 v12, 3, v16 :: v_dual_bitop2_b32 v11, 7, v10 bitop3:0x40
	s_mov_b32 s23, exec_lo
	ds_load_b64 v[0:1], v12 offset:18432
	s_wait_dscnt 0x0
	v_mov_b32_dpp v4, v0 row_shr:1 row_mask:0xf bank_mask:0xf
	v_mov_b32_dpp v7, v1 row_shr:1 row_mask:0xf bank_mask:0xf
	v_mov_b32_e32 v2, v0
	v_cmpx_ne_u32_e32 0, v11
; %bb.208:
	v_mov_b32_e32 v6, 0
	s_delay_alu instid0(VALU_DEP_1) | instskip(NEXT) | instid1(VALU_DEP_1)
	v_mov_b32_e32 v5, v6
	v_add_nc_u64_e32 v[2:3], v[0:1], v[4:5]
	s_delay_alu instid0(VALU_DEP_1)
	v_add_nc_u64_e32 v[0:1], v[6:7], v[2:3]
; %bb.209:
	s_or_b32 exec_lo, exec_lo, s23
	v_mov_b32_dpp v4, v2 row_shr:2 row_mask:0xf bank_mask:0xf
	s_delay_alu instid0(VALU_DEP_2)
	v_mov_b32_dpp v7, v1 row_shr:2 row_mask:0xf bank_mask:0xf
	s_mov_b32 s23, exec_lo
	v_cmpx_lt_u32_e32 1, v11
; %bb.210:
	v_mov_b32_e32 v6, 0
	s_delay_alu instid0(VALU_DEP_1) | instskip(NEXT) | instid1(VALU_DEP_1)
	v_mov_b32_e32 v5, v6
	v_add_nc_u64_e32 v[2:3], v[0:1], v[4:5]
	s_delay_alu instid0(VALU_DEP_1)
	v_add_nc_u64_e32 v[0:1], v[6:7], v[2:3]
; %bb.211:
	s_or_b32 exec_lo, exec_lo, s23
	v_add_nc_u32_e32 v6, 0x4800, v12
	v_mov_b32_dpp v2, v2 row_shr:4 row_mask:0xf bank_mask:0xf
	s_delay_alu instid0(VALU_DEP_3)
	v_mov_b32_dpp v5, v1 row_shr:4 row_mask:0xf bank_mask:0xf
	s_mov_b32 s23, exec_lo
	v_cmpx_lt_u32_e32 3, v11
; %bb.212:
	v_mov_b32_e32 v4, 0
	s_delay_alu instid0(VALU_DEP_1) | instskip(NEXT) | instid1(VALU_DEP_1)
	v_mov_b32_e32 v3, v4
	v_add_nc_u64_e32 v[0:1], v[0:1], v[2:3]
	s_delay_alu instid0(VALU_DEP_1)
	v_add_nc_u64_e32 v[0:1], v[0:1], v[4:5]
; %bb.213:
	s_or_b32 exec_lo, exec_lo, s23
	ds_store_b64 v6, v[0:1]
.LBB21_214:
	s_or_b32 exec_lo, exec_lo, s22
	v_mov_b64_e32 v[0:1], 0
	v_mov_b64_e32 v[2:3], 0
	s_mov_b32 s22, exec_lo
	s_wait_dscnt 0x0
	s_barrier_signal -1
	s_barrier_wait -1
	v_cmpx_lt_u32_e32 31, v16
; %bb.215:
	ds_load_b64 v[2:3], v9 offset:18424
; %bb.216:
	s_or_b32 exec_lo, exec_lo, s22
	s_wait_dscnt 0x0
	v_sub_co_u32 v3, vcc_lo, v10, 1
	s_delay_alu instid0(VALU_DEP_1) | instskip(NEXT) | instid1(VALU_DEP_1)
	v_cmp_gt_i32_e64 s22, 0, v3
	v_cndmask_b32_e64 v3, v3, v10, s22
	v_add_nc_u32_e32 v4, v8, v2
	s_movk_i32 s22, 0x4838
	s_delay_alu instid0(VALU_DEP_2)
	v_lshlrev_b32_e32 v3, 2, v3
	ds_bpermute_b32 v3, v3, v4
	s_wait_dscnt 0x0
	v_cndmask_b32_e32 v4, v3, v2, vcc_lo
.LBB21_217:
	s_wait_dscnt 0x0
	s_delay_alu instid0(VALU_DEP_1)
	v_dual_mov_b32 v2, s22 :: v_dual_sub_nc_u32 v4, v4, v0
	ds_load_b64 v[2:3], v2
	s_wait_dscnt 0x0
	s_barrier_signal -1
	s_barrier_wait -1
	s_and_saveexec_b32 s22, s21
	s_cbranch_execnz .LBB21_268
; %bb.218:
	s_or_b32 exec_lo, exec_lo, s22
	s_and_saveexec_b32 s1, s20
	s_cbranch_execnz .LBB21_269
.LBB21_219:
	s_or_b32 exec_lo, exec_lo, s1
	s_and_saveexec_b32 s1, s19
	s_cbranch_execnz .LBB21_270
.LBB21_220:
	s_or_b32 exec_lo, exec_lo, s1
	s_and_saveexec_b32 s1, s18
	s_cbranch_execnz .LBB21_271
.LBB21_221:
	s_or_b32 exec_lo, exec_lo, s1
	s_and_saveexec_b32 s1, s17
	s_cbranch_execnz .LBB21_272
.LBB21_222:
	s_or_b32 exec_lo, exec_lo, s1
	s_and_saveexec_b32 s1, s16
.LBB21_223:
	v_cndmask_b32_e64 v5, v39, v40, s6
	v_dual_lshlrev_b32 v6, 2, v4 :: v_dual_add_nc_u32 v4, 1, v4
	ds_store_b32 v6, v5 offset:19456
.LBB21_224:
	s_or_b32 exec_lo, exec_lo, s1
	v_and_b32_e32 v5, 64, v68
	s_mov_b32 s1, exec_lo
	s_delay_alu instid0(VALU_DEP_1)
	v_cmpx_ne_u32_e32 0, v5
; %bb.225:
	v_dual_cndmask_b32 v5, v41, v42, s7 :: v_dual_lshlrev_b32 v6, 2, v4
	v_add_nc_u32_e32 v4, 1, v4
	ds_store_b32 v6, v5 offset:19456
; %bb.226:
	s_or_b32 exec_lo, exec_lo, s1
	v_and_b32_e32 v5, 0x80, v67
	s_mov_b32 s1, exec_lo
	s_delay_alu instid0(VALU_DEP_1)
	v_cmpx_ne_u32_e32 0, v5
; %bb.227:
	v_cndmask_b32_e64 v5, v43, v44, s8
	v_dual_lshlrev_b32 v6, 2, v4 :: v_dual_add_nc_u32 v4, 1, v4
	ds_store_b32 v6, v5 offset:19456
; %bb.228:
	s_or_b32 exec_lo, exec_lo, s1
	v_and_b32_e32 v5, 0x100, v66
	s_mov_b32 s1, exec_lo
	s_delay_alu instid0(VALU_DEP_1)
	v_cmpx_ne_u32_e32 0, v5
; %bb.229:
	v_dual_cndmask_b32 v5, v45, v46, s9 :: v_dual_lshlrev_b32 v6, 2, v4
	v_add_nc_u32_e32 v4, 1, v4
	ds_store_b32 v6, v5 offset:19456
; %bb.230:
	s_or_b32 exec_lo, exec_lo, s1
	v_and_b32_e32 v5, 0x200, v66
	s_mov_b32 s1, exec_lo
	s_delay_alu instid0(VALU_DEP_1)
	v_cmpx_ne_u32_e32 0, v5
; %bb.231:
	v_cndmask_b32_e64 v5, v47, v48, s10
	v_dual_lshlrev_b32 v6, 2, v4 :: v_dual_add_nc_u32 v4, 1, v4
	ds_store_b32 v6, v5 offset:19456
; %bb.232:
	;; [unrolled: 20-line block ×4, first 2 shown]
	s_or_b32 exec_lo, exec_lo, s1
	v_and_b32_e32 v5, 0x4000, v63
	s_mov_b32 s1, exec_lo
	s_delay_alu instid0(VALU_DEP_1)
	v_cmpx_ne_u32_e32 0, v5
; %bb.241:
	v_dual_cndmask_b32 v5, v57, v58, s15 :: v_dual_lshlrev_b32 v6, 2, v4
	v_add_nc_u32_e32 v4, 1, v4
	ds_store_b32 v6, v5 offset:19456
; %bb.242:
	s_or_b32 exec_lo, exec_lo, s1
	v_and_b32_e32 v5, 0x8000, v63
	s_mov_b32 s3, exec_lo
	s_delay_alu instid0(VALU_DEP_1)
	v_cmpx_ne_u32_e32 0, v5
	s_cbranch_execz .LBB21_244
; %bb.243:
	v_cmp_lt_i32_e32 vcc_lo, v61, v59
	v_cmp_lt_i32_e64 s1, v62, v28
	v_cmp_ge_i32_e64 s2, v60, v27
	v_lshlrev_b32_e32 v4, 2, v4
	s_and_b32 s1, s1, vcc_lo
	s_delay_alu instid0(SALU_CYCLE_1)
	s_or_b32 vcc_lo, s2, s1
	v_cndmask_b32_e32 v5, v59, v61, vcc_lo
	ds_store_b32 v4, v5 offset:19456
.LBB21_244:
	s_or_b32 exec_lo, exec_lo, s3
	s_delay_alu instid0(SALU_CYCLE_1)
	s_mov_b32 s1, exec_lo
	s_wait_dscnt 0x0
	s_barrier_signal -1
	s_barrier_wait -1
	v_cmpx_lt_i32_e64 v16, v2
	s_cbranch_execz .LBB21_252
; %bb.245:
	v_lshlrev_b64_e32 v[4:5], 2, v[0:1]
	v_xad_u32 v7, v16, -1, v2
	v_mov_b32_e32 v6, v16
	s_mov_b32 s3, -1
	s_mov_b32 s2, exec_lo
	s_delay_alu instid0(VALU_DEP_2)
	v_cmpx_lt_u32_e32 0xff, v7
	s_cbranch_execz .LBB21_249
; %bb.246:
	v_dual_mov_b32 v9, 0 :: v_dual_lshrrev_b32 v6, 8, v7
	v_mov_b64_e32 v[10:11], v[16:17]
	v_lshl_add_u32 v14, v16, 2, 0x4c00
	s_mov_b32 s3, 0
	s_delay_alu instid0(VALU_DEP_3) | instskip(SKIP_1) | instid1(VALU_DEP_2)
	v_add_nc_u32_e32 v12, 1, v6
	v_add_nc_u64_e32 v[6:7], s[24:25], v[4:5]
	v_and_b32_e32 v13, 0x1fffffe, v12
	s_delay_alu instid0(VALU_DEP_1)
	v_mov_b32_e32 v15, v13
.LBB21_247:                             ; =>This Inner Loop Header: Depth=1
	ds_load_2addr_stride64_b32 v[22:23], v14 offset1:4
	v_dual_mov_b32 v8, v10 :: v_dual_add_nc_u32 v15, -2, v15
	v_add_nc_u32_e32 v10, 0x200, v10
	v_add_nc_u32_e32 v14, 0x800, v14
	s_delay_alu instid0(VALU_DEP_3) | instskip(SKIP_2) | instid1(VALU_DEP_2)
	v_lshl_add_u64 v[24:25], v[8:9], 2, v[6:7]
	v_dual_mov_b32 v8, v11 :: v_dual_add_nc_u32 v11, 0x200, v11
	v_cmp_eq_u32_e32 vcc_lo, 0, v15
	v_lshl_add_u64 v[28:29], v[8:9], 2, v[6:7]
	s_wait_dscnt 0x0
	s_clause 0x1
	global_store_b32 v[24:25], v22, off
	global_store_b32 v[28:29], v23, off
	s_or_b32 s3, vcc_lo, s3
	s_wait_xcnt 0x0
	s_and_not1_b32 exec_lo, exec_lo, s3
	s_cbranch_execnz .LBB21_247
; %bb.248:
	s_or_b32 exec_lo, exec_lo, s3
	v_cmp_ne_u32_e32 vcc_lo, v12, v13
	v_lshl_add_u32 v6, v13, 8, v16
	s_or_not1_b32 s3, vcc_lo, exec_lo
.LBB21_249:
	s_or_b32 exec_lo, exec_lo, s2
	s_delay_alu instid0(SALU_CYCLE_1)
	s_and_b32 exec_lo, exec_lo, s3
	s_cbranch_execz .LBB21_252
; %bb.250:
	v_add_nc_u64_e32 v[4:5], s[24:25], v[4:5]
	v_mov_b32_e32 v7, 0
	v_lshl_add_u32 v8, v6, 2, 0x4c00
	s_mov_b32 s2, 0
	s_delay_alu instid0(VALU_DEP_2)
	v_lshl_add_u64 v[4:5], v[6:7], 2, v[4:5]
.LBB21_251:                             ; =>This Inner Loop Header: Depth=1
	ds_load_b32 v7, v8
	v_add_nc_u32_e32 v6, 0x100, v6
	v_add_nc_u32_e32 v8, 0x400, v8
	s_delay_alu instid0(VALU_DEP_2)
	v_cmp_ge_i32_e32 vcc_lo, v6, v2
	s_or_b32 s2, vcc_lo, s2
	s_wait_dscnt 0x0
	global_store_b32 v[4:5], v7, off
	s_wait_xcnt 0x0
	v_add_nc_u64_e32 v[4:5], 0x400, v[4:5]
	s_and_not1_b32 exec_lo, exec_lo, s2
	s_cbranch_execnz .LBB21_251
.LBB21_252:
	s_or_b32 exec_lo, exec_lo, s1
	s_and_saveexec_b32 s1, s0
	s_cbranch_execz .LBB21_254
; %bb.253:
	v_add_nc_u64_e32 v[0:1], v[2:3], v[0:1]
	v_mov_b32_e32 v2, 0
	global_store_b64 v2, v[0:1], s[26:27]
.LBB21_254:
	s_wait_xcnt 0x0
	s_or_b32 exec_lo, exec_lo, s1
	s_mov_b32 s0, 0
.LBB21_255:
	s_delay_alu instid0(SALU_CYCLE_1)
	s_and_b32 vcc_lo, exec_lo, s0
	s_cbranch_vccz .LBB21_482
; %bb.256:
	v_dual_mov_b32 v17, 0 :: v_dual_lshlrev_b32 v0, 2, v16
	v_add_nc_u32_e32 v22, 0x100, v16
	v_subrev_nc_u32_e32 v4, s31, v16
	v_cmp_gt_i32_e32 vcc_lo, s31, v16
	s_delay_alu instid0(VALU_DEP_4) | instskip(SKIP_3) | instid1(VALU_DEP_4)
	v_dual_mov_b32 v1, v17 :: v_dual_mov_b32 v5, v17
	v_mov_b32_e32 v7, v17
	v_subrev_nc_u32_e32 v6, s31, v22
	v_cmp_gt_i32_e64 s0, s31, v22
	v_add_nc_u64_e32 v[2:3], v[20:21], v[0:1]
	v_lshl_add_u64 v[4:5], v[4:5], 2, v[18:19]
	v_add_nc_u32_e32 v13, 0x200, v16
	v_lshl_add_u64 v[6:7], v[6:7], 2, v[18:19]
	v_add_nc_u32_e32 v23, 0x300, v16
	v_or_b32_e32 v24, 0x400, v16
	v_add_nc_u32_e32 v27, 0x900, v16
	v_add_nc_u64_e32 v[10:11], 0x400, v[2:3]
	v_dual_mov_b32 v9, v17 :: v_dual_cndmask_b32 v14, v4, v2
	v_subrev_nc_u32_e32 v8, s31, v13
	v_add_nc_u64_e32 v[20:21], 0x800, v[2:3]
	v_cndmask_b32_e32 v15, v5, v3, vcc_lo
	v_cmp_gt_i32_e32 vcc_lo, s31, v13
	v_cndmask_b32_e64 v7, v7, v11, s0
	v_lshl_add_u64 v[8:9], v[8:9], 2, v[18:19]
	v_cndmask_b32_e64 v6, v6, v10, s0
	v_subrev_nc_u32_e32 v12, s31, v23
	v_mov_b32_e32 v13, v17
	global_load_b32 v1, v[14:15], off
	global_load_b32 v4, v[6:7], off
	s_wait_xcnt 0x0
	v_dual_cndmask_b32 v7, v9, v21 :: v_dual_cndmask_b32 v6, v8, v20
	v_add_nc_u64_e32 v[8:9], 0xc00, v[2:3]
	v_lshl_add_u64 v[10:11], v[12:13], 2, v[18:19]
	v_subrev_nc_u32_e32 v12, s31, v24
	v_cmp_gt_i32_e32 vcc_lo, s31, v23
	v_add_nc_u32_e32 v20, 0x500, v16
	v_add_nc_u64_e32 v[14:15], 0x1000, v[2:3]
	v_cmp_gt_i32_e64 s0, s31, v24
	v_lshl_add_u64 v[12:13], v[12:13], 2, v[18:19]
	v_dual_cndmask_b32 v9, v11, v9 :: v_dual_cndmask_b32 v8, v10, v8
	v_subrev_nc_u32_e32 v10, s31, v20
	s_delay_alu instid0(VALU_DEP_3)
	v_dual_mov_b32 v11, v17 :: v_dual_cndmask_b32 v12, v12, v14, s0
	v_cmp_gt_i32_e32 vcc_lo, s31, v20
	global_load_b32 v5, v[6:7], off
	global_load_b32 v6, v[8:9], off
	v_lshl_add_u64 v[10:11], v[10:11], 2, v[18:19]
	v_cndmask_b32_e64 v13, v13, v15, s0
	v_add_nc_u64_e32 v[14:15], 0x1400, v[2:3]
	v_add_nc_u32_e32 v23, 0x700, v16
	v_add_nc_u64_e32 v[24:25], 0x2400, v[2:3]
	v_add_nc_u64_e32 v[28:29], 0x2c00, v[2:3]
	;; [unrolled: 1-line block ×4, first 2 shown]
	v_cmp_gt_i32_e64 s0, s31, v23
	s_wait_xcnt 0x0
	v_dual_cndmask_b32 v9, v11, v15 :: v_dual_cndmask_b32 v8, v10, v14
	v_add_nc_u64_e32 v[10:11], 0x1800, v[2:3]
	v_add_nc_u32_e32 v21, 0x600, v16
	global_load_b32 v7, v[12:13], off
	s_wait_xcnt 0x0
	v_dual_mov_b32 v13, v17 :: v_dual_mov_b32 v15, v17
	v_subrev_nc_u32_e32 v14, s31, v23
	v_subrev_nc_u32_e32 v12, s31, v21
	v_cmp_gt_i32_e32 vcc_lo, s31, v21
	v_add_nc_u64_e32 v[20:21], 0x1c00, v[2:3]
	v_or_b32_e32 v23, 0x800, v16
	v_lshl_add_u64 v[14:15], v[14:15], 2, v[18:19]
	v_lshl_add_u64 v[12:13], v[12:13], 2, v[18:19]
	global_load_b32 v8, v[8:9], off
	v_mov_b32_e32 v35, v17
	v_dual_cndmask_b32 v11, v13, v11, vcc_lo :: v_dual_cndmask_b32 v13, v15, v21, s0
	v_dual_cndmask_b32 v10, v12, v10, vcc_lo :: v_dual_cndmask_b32 v12, v14, v20, s0
	v_mov_b32_e32 v15, v17
	v_subrev_nc_u32_e32 v14, s31, v23
	v_add_nc_u64_e32 v[20:21], 0x2000, v[2:3]
	global_load_b32 v9, v[10:11], off
	global_load_b32 v10, v[12:13], off
	s_wait_xcnt 0x0
	v_subrev_nc_u32_e32 v12, s31, v27
	v_lshl_add_u64 v[14:15], v[14:15], 2, v[18:19]
	v_cmp_gt_i32_e32 vcc_lo, s31, v23
	v_mov_b32_e32 v13, v17
	v_cmp_gt_i32_e64 s0, s31, v27
	v_add_nc_u32_e32 v23, 0xa00, v16
	v_add_nc_u32_e32 v27, 0xe00, v16
	v_cndmask_b32_e32 v15, v15, v21, vcc_lo
	v_lshl_add_u64 v[12:13], v[12:13], 2, v[18:19]
	v_cndmask_b32_e32 v14, v14, v20, vcc_lo
	v_cmp_gt_i32_e32 vcc_lo, s31, v23
	v_subrev_nc_u32_e32 v34, s31, v27
	v_cmp_gt_i32_e64 s1, s31, v27
	v_dual_cndmask_b32 v21, v13, v25, s0 :: v_dual_cndmask_b32 v20, v12, v24, s0
	v_mov_b32_e32 v25, v17
	v_subrev_nc_u32_e32 v24, s31, v23
	v_add_nc_u32_e32 v13, 0xb00, v16
	global_load_b32 v11, v[14:15], off
	global_load_b32 v12, v[20:21], off
	s_wait_xcnt 0x1
	v_add_nc_u64_e32 v[14:15], 0x2800, v[2:3]
	v_or_b32_e32 v23, 0xc00, v16
	s_wait_xcnt 0x0
	v_lshl_add_u64 v[20:21], v[24:25], 2, v[18:19]
	v_subrev_nc_u32_e32 v24, s31, v13
	v_lshl_add_u64 v[34:35], v[34:35], 2, v[18:19]
	s_delay_alu instid0(VALU_DEP_3) | instskip(NEXT) | instid1(VALU_DEP_3)
	v_cndmask_b32_e32 v30, v20, v14, vcc_lo
	v_lshl_add_u64 v[24:25], v[24:25], 2, v[18:19]
	v_cndmask_b32_e32 v31, v21, v15, vcc_lo
	v_cmp_gt_i32_e32 vcc_lo, s31, v13
	v_subrev_nc_u32_e32 v14, s31, v23
	v_mov_b32_e32 v15, v17
	v_add_nc_u64_e32 v[20:21], 0x3000, v[2:3]
	v_add_nc_u32_e32 v13, 0xd00, v16
	v_dual_cndmask_b32 v25, v25, v29 :: v_dual_cndmask_b32 v24, v24, v28
	v_mov_b32_e32 v29, v17
	v_lshl_add_u64 v[14:15], v[14:15], 2, v[18:19]
	v_cmp_gt_i32_e32 vcc_lo, s31, v23
	v_subrev_nc_u32_e32 v28, s31, v13
	v_cmp_gt_i32_e64 s0, s31, v13
	v_dual_cndmask_b32 v35, v35, v39, s1 :: v_dual_cndmask_b32 v34, v34, v38, s1
	v_cndmask_b32_e32 v33, v15, v21, vcc_lo
	s_delay_alu instid0(VALU_DEP_4) | instskip(SKIP_1) | instid1(VALU_DEP_2)
	v_lshl_add_u64 v[28:29], v[28:29], 2, v[18:19]
	v_dual_cndmask_b32 v32, v14, v20 :: v_dual_add_nc_u32 v23, s31, v26
	v_dual_cndmask_b32 v29, v29, v37, s0 :: v_dual_cndmask_b32 v28, v28, v36, s0
	global_load_b32 v15, v[30:31], off
	global_load_b32 v20, v[24:25], off
	;; [unrolled: 1-line block ×5, first 2 shown]
	s_wait_xcnt 0x3
	v_dual_mov_b32 v24, 0 :: v_dual_add_nc_u32 v25, 0xf00, v16
	s_mov_b32 s0, exec_lo
	s_wait_xcnt 0x0
	s_delay_alu instid0(VALU_DEP_1)
	v_cmpx_lt_i32_e64 v25, v23
	s_cbranch_execz .LBB21_258
; %bb.257:
	v_subrev_nc_u32_e32 v28, s31, v25
	v_add_nc_u64_e32 v[2:3], 0x3c00, v[2:3]
	v_cmp_gt_i32_e32 vcc_lo, s31, v25
	v_mov_b32_e32 v29, 0
	s_delay_alu instid0(VALU_DEP_1) | instskip(NEXT) | instid1(VALU_DEP_1)
	v_lshl_add_u64 v[18:19], v[28:29], 2, v[18:19]
	v_dual_cndmask_b32 v3, v19, v3 :: v_dual_cndmask_b32 v2, v18, v2
	global_load_b32 v24, v[2:3], off
.LBB21_258:
	s_wait_xcnt 0x0
	s_or_b32 exec_lo, exec_lo, s0
	v_lshlrev_b32_e32 v2, 4, v16
	s_wait_loadcnt 0xd
	ds_store_2addr_stride64_b32 v0, v1, v4 offset0:4 offset1:8
	s_wait_loadcnt 0xb
	ds_store_2addr_stride64_b32 v0, v5, v6 offset0:12 offset1:16
	s_lshl_b32 s2, s31, 2
	s_mov_b32 s1, 0
	s_mov_b32 s0, exec_lo
	v_min_i32_e32 v2, v23, v2
	s_wait_loadcnt 0x9
	ds_store_2addr_stride64_b32 v0, v7, v8 offset0:20 offset1:24
	s_wait_loadcnt 0x7
	ds_store_2addr_stride64_b32 v0, v9, v10 offset0:28 offset1:32
	;; [unrolled: 2-line block ×6, first 2 shown]
	s_wait_storecnt_dscnt 0x0
	s_barrier_signal -1
	v_sub_nc_u32_e32 v1, v2, v26
	v_min_i32_e32 v3, s31, v2
	s_barrier_wait -1
	s_delay_alu instid0(VALU_DEP_2) | instskip(NEXT) | instid1(VALU_DEP_1)
	v_max_i32_e32 v1, 0, v1
	v_cmpx_lt_i32_e64 v1, v3
	s_cbranch_execz .LBB21_262
; %bb.259:
	v_lshlrev_b32_e32 v4, 2, v2
	s_delay_alu instid0(VALU_DEP_1)
	v_add3_u32 v4, s2, v4, 0x400
.LBB21_260:                             ; =>This Inner Loop Header: Depth=1
	v_add_nc_u32_e32 v5, v3, v1
	s_delay_alu instid0(VALU_DEP_1) | instskip(NEXT) | instid1(VALU_DEP_1)
	v_lshrrev_b32_e32 v5, 1, v5
	v_not_b32_e32 v6, v5
	v_dual_lshlrev_b32 v7, 2, v5 :: v_dual_add_nc_u32 v8, 1, v5
	s_delay_alu instid0(VALU_DEP_2)
	v_lshl_add_u32 v6, v6, 2, v4
	ds_load_b32 v7, v7 offset:1024
	ds_load_b32 v6, v6
	s_wait_dscnt 0x0
	v_cmp_lt_i32_e32 vcc_lo, v6, v7
	v_cndmask_b32_e32 v3, v3, v5, vcc_lo
	v_cndmask_b32_e32 v1, v8, v1, vcc_lo
	s_delay_alu instid0(VALU_DEP_1) | instskip(SKIP_1) | instid1(SALU_CYCLE_1)
	v_cmp_ge_i32_e32 vcc_lo, v1, v3
	s_or_b32 s1, vcc_lo, s1
	s_and_not1_b32 exec_lo, exec_lo, s1
	s_cbranch_execnz .LBB21_260
; %bb.261:
	s_or_b32 exec_lo, exec_lo, s1
.LBB21_262:
	s_delay_alu instid0(SALU_CYCLE_1) | instskip(SKIP_2) | instid1(VALU_DEP_1)
	s_or_b32 exec_lo, exec_lo, s0
	v_dual_sub_nc_u32 v6, v2, v1 :: v_dual_mov_b32 v4, 0
	s_mov_b32 s1, exec_lo
	v_cmpx_lt_i32_e64 v6, v26
	s_cbranch_execz .LBB21_297
; %bb.263:
	v_lshl_add_u32 v4, v6, 2, s2
	v_dual_mov_b32 v3, 0 :: v_dual_mov_b32 v7, 0
	s_mov_b32 s0, exec_lo
	ds_load_b32 v5, v4 offset:1024
	v_cmpx_lt_i32_e32 0, v1
	s_cbranch_execnz .LBB21_273
; %bb.264:
	s_or_b32 exec_lo, exec_lo, s0
	s_delay_alu instid0(SALU_CYCLE_1)
	s_mov_b32 s0, exec_lo
	v_cmpx_lt_i32_e64 v3, v7
	s_cbranch_execnz .LBB21_274
.LBB21_265:
	s_or_b32 exec_lo, exec_lo, s0
	s_delay_alu instid0(SALU_CYCLE_1)
	s_mov_b32 s0, exec_lo
	v_cmpx_lt_i32_e64 v3, v7
	s_cbranch_execnz .LBB21_275
.LBB21_266:
	s_or_b32 exec_lo, exec_lo, s0
	s_delay_alu instid0(SALU_CYCLE_1)
	s_mov_b32 s0, exec_lo
	v_cmpx_lt_i32_e64 v3, v7
	s_cbranch_execnz .LBB21_276
.LBB21_267:
	s_or_b32 exec_lo, exec_lo, s0
	s_delay_alu instid0(SALU_CYCLE_1)
	s_mov_b32 s0, exec_lo
	v_cmpx_lt_i32_e64 v3, v7
	s_cbranch_execnz .LBB21_277
	s_branch .LBB21_280
.LBB21_268:
	v_dual_add_nc_u32 v5, 1, v4 :: v_dual_cndmask_b32 v6, v29, v30, s1
	s_delay_alu instid0(VALU_DEP_1)
	v_dual_mov_b32 v4, v5 :: v_dual_lshlrev_b32 v7, 2, v4
	ds_store_b32 v7, v6 offset:19456
	s_or_b32 exec_lo, exec_lo, s22
	s_and_saveexec_b32 s1, s20
	s_cbranch_execz .LBB21_219
.LBB21_269:
	v_cndmask_b32_e64 v5, v31, v32, s2
	v_dual_lshlrev_b32 v6, 2, v4 :: v_dual_add_nc_u32 v4, 1, v4
	ds_store_b32 v6, v5 offset:19456
	s_or_b32 exec_lo, exec_lo, s1
	s_and_saveexec_b32 s1, s19
	s_cbranch_execz .LBB21_220
.LBB21_270:
	v_dual_cndmask_b32 v5, v33, v34, s3 :: v_dual_lshlrev_b32 v6, 2, v4
	v_add_nc_u32_e32 v4, 1, v4
	ds_store_b32 v6, v5 offset:19456
	s_or_b32 exec_lo, exec_lo, s1
	s_and_saveexec_b32 s1, s18
	s_cbranch_execz .LBB21_221
.LBB21_271:
	v_cndmask_b32_e64 v5, v35, v36, s4
	v_dual_lshlrev_b32 v6, 2, v4 :: v_dual_add_nc_u32 v4, 1, v4
	ds_store_b32 v6, v5 offset:19456
	s_or_b32 exec_lo, exec_lo, s1
	s_and_saveexec_b32 s1, s17
	s_cbranch_execz .LBB21_222
.LBB21_272:
	v_dual_cndmask_b32 v5, v37, v38, s5 :: v_dual_lshlrev_b32 v6, 2, v4
	v_add_nc_u32_e32 v4, 1, v4
	ds_store_b32 v6, v5 offset:19456
	s_or_b32 exec_lo, exec_lo, s1
	s_and_saveexec_b32 s1, s16
	s_cbranch_execnz .LBB21_223
	s_branch .LBB21_224
.LBB21_273:
	v_mul_lo_u32 v3, 0x1ff, v1
	s_delay_alu instid0(VALU_DEP_1) | instskip(NEXT) | instid1(VALU_DEP_1)
	v_ashrrev_i32_e32 v7, 9, v3
	v_dual_lshlrev_b32 v3, 2, v7 :: v_dual_add_nc_u32 v8, 1, v7
	ds_load_b32 v3, v3 offset:1024
	s_wait_dscnt 0x0
	v_cmp_lt_i32_e32 vcc_lo, v3, v5
	v_dual_cndmask_b32 v3, 0, v8, vcc_lo :: v_dual_cndmask_b32 v7, v7, v1, vcc_lo
	s_or_b32 exec_lo, exec_lo, s0
	s_delay_alu instid0(SALU_CYCLE_1) | instskip(NEXT) | instid1(VALU_DEP_1)
	s_mov_b32 s0, exec_lo
	v_cmpx_lt_i32_e64 v3, v7
	s_cbranch_execz .LBB21_265
.LBB21_274:
	v_sub_nc_u32_e32 v8, v3, v7
	s_delay_alu instid0(VALU_DEP_1) | instskip(NEXT) | instid1(VALU_DEP_1)
	v_lshl_add_u32 v8, v7, 7, v8
	v_ashrrev_i32_e32 v8, 7, v8
	s_delay_alu instid0(VALU_DEP_1)
	v_dual_lshlrev_b32 v9, 2, v8 :: v_dual_add_nc_u32 v10, 1, v8
	ds_load_b32 v9, v9 offset:1024
	s_wait_dscnt 0x0
	v_cmp_lt_i32_e32 vcc_lo, v9, v5
	v_dual_cndmask_b32 v3, v3, v10, vcc_lo :: v_dual_cndmask_b32 v7, v8, v7, vcc_lo
	s_or_b32 exec_lo, exec_lo, s0
	s_delay_alu instid0(SALU_CYCLE_1) | instskip(NEXT) | instid1(VALU_DEP_1)
	s_mov_b32 s0, exec_lo
	v_cmpx_lt_i32_e64 v3, v7
	s_cbranch_execz .LBB21_266
.LBB21_275:
	v_sub_nc_u32_e32 v8, v3, v7
	s_delay_alu instid0(VALU_DEP_1) | instskip(NEXT) | instid1(VALU_DEP_1)
	v_lshl_add_u32 v8, v7, 5, v8
	v_ashrrev_i32_e32 v8, 5, v8
	s_delay_alu instid0(VALU_DEP_1)
	v_dual_lshlrev_b32 v9, 2, v8 :: v_dual_add_nc_u32 v10, 1, v8
	ds_load_b32 v9, v9 offset:1024
	s_wait_dscnt 0x0
	v_cmp_lt_i32_e32 vcc_lo, v9, v5
	v_dual_cndmask_b32 v3, v3, v10, vcc_lo :: v_dual_cndmask_b32 v7, v8, v7, vcc_lo
	s_or_b32 exec_lo, exec_lo, s0
	s_delay_alu instid0(SALU_CYCLE_1) | instskip(NEXT) | instid1(VALU_DEP_1)
	s_mov_b32 s0, exec_lo
	v_cmpx_lt_i32_e64 v3, v7
	s_cbranch_execz .LBB21_267
.LBB21_276:
	v_sub_nc_u32_e32 v8, v3, v7
	s_delay_alu instid0(VALU_DEP_1) | instskip(NEXT) | instid1(VALU_DEP_1)
	v_lshl_add_u32 v8, v7, 4, v8
	v_ashrrev_i32_e32 v8, 4, v8
	s_delay_alu instid0(VALU_DEP_1)
	v_dual_lshlrev_b32 v9, 2, v8 :: v_dual_add_nc_u32 v10, 1, v8
	ds_load_b32 v9, v9 offset:1024
	s_wait_dscnt 0x0
	v_cmp_lt_i32_e32 vcc_lo, v9, v5
	v_dual_cndmask_b32 v3, v3, v10, vcc_lo :: v_dual_cndmask_b32 v7, v8, v7, vcc_lo
	s_or_b32 exec_lo, exec_lo, s0
	s_delay_alu instid0(SALU_CYCLE_1) | instskip(NEXT) | instid1(VALU_DEP_1)
	s_mov_b32 s0, exec_lo
	v_cmpx_lt_i32_e64 v3, v7
	s_cbranch_execz .LBB21_280
.LBB21_277:
	s_mov_b32 s3, 0
.LBB21_278:                             ; =>This Inner Loop Header: Depth=1
	v_sub_nc_u32_e32 v8, v3, v7
	s_delay_alu instid0(VALU_DEP_1) | instskip(NEXT) | instid1(VALU_DEP_1)
	v_lshl_add_u32 v8, v7, 1, v8
	v_ashrrev_i32_e32 v8, 1, v8
	s_delay_alu instid0(VALU_DEP_1) | instskip(SKIP_4) | instid1(VALU_DEP_1)
	v_dual_lshlrev_b32 v9, 2, v8 :: v_dual_add_nc_u32 v10, 1, v8
	ds_load_b32 v9, v9 offset:1024
	s_wait_dscnt 0x0
	v_cmp_lt_i32_e32 vcc_lo, v9, v5
	v_dual_cndmask_b32 v3, v3, v10, vcc_lo :: v_dual_cndmask_b32 v7, v8, v7, vcc_lo
	v_cmp_ge_i32_e32 vcc_lo, v3, v7
	s_or_b32 s3, vcc_lo, s3
	s_delay_alu instid0(SALU_CYCLE_1)
	s_and_not1_b32 exec_lo, exec_lo, s3
	s_cbranch_execnz .LBB21_278
; %bb.279:
	s_or_b32 exec_lo, exec_lo, s3
.LBB21_280:
	s_delay_alu instid0(SALU_CYCLE_1)
	s_or_b32 exec_lo, exec_lo, s0
	v_dual_mov_b32 v7, 0 :: v_dual_mov_b32 v8, v6
	s_mov_b32 s0, exec_lo
	v_cmpx_lt_i32_e32 0, v6
	s_cbranch_execnz .LBB21_285
; %bb.281:
	s_or_b32 exec_lo, exec_lo, s0
	s_delay_alu instid0(SALU_CYCLE_1)
	s_mov_b32 s0, exec_lo
	v_cmpx_lt_i32_e64 v7, v8
	s_cbranch_execnz .LBB21_286
.LBB21_282:
	s_or_b32 exec_lo, exec_lo, s0
	s_delay_alu instid0(SALU_CYCLE_1)
	s_mov_b32 s0, exec_lo
	v_cmpx_lt_i32_e64 v7, v8
	s_cbranch_execnz .LBB21_287
.LBB21_283:
	s_or_b32 exec_lo, exec_lo, s0
	s_delay_alu instid0(SALU_CYCLE_1)
	s_mov_b32 s0, exec_lo
	v_cmpx_lt_i32_e64 v7, v8
	s_cbranch_execnz .LBB21_288
.LBB21_284:
	s_or_b32 exec_lo, exec_lo, s0
	s_delay_alu instid0(SALU_CYCLE_1)
	s_mov_b32 s0, exec_lo
	v_cmpx_lt_i32_e64 v7, v8
	s_cbranch_execnz .LBB21_289
	s_branch .LBB21_292
.LBB21_285:
	v_mul_lo_u32 v7, 0x1ff, v6
	s_delay_alu instid0(VALU_DEP_1) | instskip(NEXT) | instid1(VALU_DEP_1)
	v_lshrrev_b32_e32 v8, 9, v7
	v_lshl_add_u32 v7, v8, 2, s2
	ds_load_b32 v7, v7 offset:1024
	s_wait_dscnt 0x0
	v_cmp_lt_i32_e32 vcc_lo, v7, v5
	v_add_nc_u32_e32 v9, 1, v8
	s_delay_alu instid0(VALU_DEP_1) | instskip(SKIP_1) | instid1(SALU_CYCLE_1)
	v_dual_cndmask_b32 v7, 0, v9 :: v_dual_cndmask_b32 v8, v8, v6
	s_or_b32 exec_lo, exec_lo, s0
	s_mov_b32 s0, exec_lo
	s_delay_alu instid0(VALU_DEP_1)
	v_cmpx_lt_i32_e64 v7, v8
	s_cbranch_execz .LBB21_282
.LBB21_286:
	v_sub_nc_u32_e32 v9, v7, v8
	s_delay_alu instid0(VALU_DEP_1) | instskip(NEXT) | instid1(VALU_DEP_1)
	v_lshl_add_u32 v9, v8, 7, v9
	v_ashrrev_i32_e32 v9, 7, v9
	s_delay_alu instid0(VALU_DEP_1) | instskip(SKIP_4) | instid1(VALU_DEP_1)
	v_lshl_add_u32 v10, v9, 2, s2
	ds_load_b32 v10, v10 offset:1024
	s_wait_dscnt 0x0
	v_cmp_lt_i32_e32 vcc_lo, v10, v5
	v_dual_cndmask_b32 v8, v9, v8 :: v_dual_add_nc_u32 v11, 1, v9
	v_cndmask_b32_e32 v7, v7, v11, vcc_lo
	s_or_b32 exec_lo, exec_lo, s0
	s_delay_alu instid0(SALU_CYCLE_1) | instskip(NEXT) | instid1(VALU_DEP_1)
	s_mov_b32 s0, exec_lo
	v_cmpx_lt_i32_e64 v7, v8
	s_cbranch_execz .LBB21_283
.LBB21_287:
	v_sub_nc_u32_e32 v9, v7, v8
	s_delay_alu instid0(VALU_DEP_1) | instskip(NEXT) | instid1(VALU_DEP_1)
	v_lshl_add_u32 v9, v8, 5, v9
	v_ashrrev_i32_e32 v9, 5, v9
	s_delay_alu instid0(VALU_DEP_1) | instskip(SKIP_4) | instid1(VALU_DEP_1)
	v_lshl_add_u32 v10, v9, 2, s2
	ds_load_b32 v10, v10 offset:1024
	s_wait_dscnt 0x0
	v_cmp_lt_i32_e32 vcc_lo, v10, v5
	v_dual_cndmask_b32 v8, v9, v8 :: v_dual_add_nc_u32 v11, 1, v9
	v_cndmask_b32_e32 v7, v7, v11, vcc_lo
	s_or_b32 exec_lo, exec_lo, s0
	s_delay_alu instid0(SALU_CYCLE_1) | instskip(NEXT) | instid1(VALU_DEP_1)
	s_mov_b32 s0, exec_lo
	v_cmpx_lt_i32_e64 v7, v8
	s_cbranch_execz .LBB21_284
.LBB21_288:
	v_sub_nc_u32_e32 v9, v7, v8
	s_delay_alu instid0(VALU_DEP_1) | instskip(NEXT) | instid1(VALU_DEP_1)
	v_lshl_add_u32 v9, v8, 4, v9
	v_ashrrev_i32_e32 v9, 4, v9
	s_delay_alu instid0(VALU_DEP_1) | instskip(SKIP_4) | instid1(VALU_DEP_1)
	v_lshl_add_u32 v10, v9, 2, s2
	ds_load_b32 v10, v10 offset:1024
	s_wait_dscnt 0x0
	v_cmp_lt_i32_e32 vcc_lo, v10, v5
	v_dual_cndmask_b32 v8, v9, v8 :: v_dual_add_nc_u32 v11, 1, v9
	v_cndmask_b32_e32 v7, v7, v11, vcc_lo
	s_or_b32 exec_lo, exec_lo, s0
	s_delay_alu instid0(SALU_CYCLE_1) | instskip(NEXT) | instid1(VALU_DEP_1)
	s_mov_b32 s0, exec_lo
	v_cmpx_lt_i32_e64 v7, v8
	s_cbranch_execz .LBB21_292
.LBB21_289:
	s_mov_b32 s3, 0
.LBB21_290:                             ; =>This Inner Loop Header: Depth=1
	v_sub_nc_u32_e32 v9, v7, v8
	s_delay_alu instid0(VALU_DEP_1) | instskip(NEXT) | instid1(VALU_DEP_1)
	v_lshl_add_u32 v9, v8, 1, v9
	v_ashrrev_i32_e32 v9, 1, v9
	s_delay_alu instid0(VALU_DEP_1) | instskip(SKIP_4) | instid1(VALU_DEP_1)
	v_lshl_add_u32 v10, v9, 2, s2
	ds_load_b32 v10, v10 offset:1024
	s_wait_dscnt 0x0
	v_cmp_lt_i32_e32 vcc_lo, v10, v5
	v_dual_cndmask_b32 v8, v9, v8 :: v_dual_add_nc_u32 v11, 1, v9
	v_cndmask_b32_e32 v7, v7, v11, vcc_lo
	s_delay_alu instid0(VALU_DEP_1) | instskip(SKIP_1) | instid1(SALU_CYCLE_1)
	v_cmp_ge_i32_e32 vcc_lo, v7, v8
	s_or_b32 s3, vcc_lo, s3
	s_and_not1_b32 exec_lo, exec_lo, s3
	s_cbranch_execnz .LBB21_290
; %bb.291:
	s_or_b32 exec_lo, exec_lo, s3
.LBB21_292:
	s_delay_alu instid0(SALU_CYCLE_1) | instskip(SKIP_3) | instid1(VALU_DEP_1)
	s_or_b32 exec_lo, exec_lo, s0
	v_sub_nc_u32_e32 v1, v1, v3
	v_sub_nc_u32_e32 v9, v6, v7
	s_mov_b32 s0, exec_lo
	v_add_nc_u32_e32 v8, v9, v1
	s_delay_alu instid0(VALU_DEP_1) | instskip(NEXT) | instid1(VALU_DEP_1)
	v_ashrrev_i32_e32 v1, 1, v8
	v_max_i32_e32 v1, v1, v9
	s_delay_alu instid0(VALU_DEP_1) | instskip(NEXT) | instid1(VALU_DEP_1)
	v_add_nc_u32_e32 v7, v7, v1
	v_add_min_i32_e64 v7, v7, 1, v26
	s_delay_alu instid0(VALU_DEP_1) | instskip(NEXT) | instid1(VALU_DEP_1)
	v_dual_mov_b32 v6, 0 :: v_dual_sub_nc_u32 v7, v7, v6
	v_cmpx_lt_i32_e32 0, v7
	s_cbranch_execz .LBB21_296
; %bb.293:
	v_mov_b32_e32 v6, 0
	s_mov_b32 s3, 0
.LBB21_294:                             ; =>This Inner Loop Header: Depth=1
	s_delay_alu instid0(VALU_DEP_1) | instskip(NEXT) | instid1(VALU_DEP_1)
	v_add_nc_u32_e32 v10, v6, v7
	v_lshrrev_b32_e32 v10, 1, v10
	s_delay_alu instid0(VALU_DEP_1) | instskip(SKIP_4) | instid1(VALU_DEP_1)
	v_lshl_add_u32 v11, v10, 2, v4
	ds_load_b32 v11, v11 offset:1024
	s_wait_dscnt 0x0
	v_cmp_lt_i32_e32 vcc_lo, v5, v11
	v_dual_cndmask_b32 v7, v7, v10 :: v_dual_add_nc_u32 v12, 1, v10
	v_cndmask_b32_e32 v6, v12, v6, vcc_lo
	s_delay_alu instid0(VALU_DEP_1) | instskip(SKIP_1) | instid1(SALU_CYCLE_1)
	v_cmp_ge_i32_e32 vcc_lo, v6, v7
	s_or_b32 s3, vcc_lo, s3
	s_and_not1_b32 exec_lo, exec_lo, s3
	s_cbranch_execnz .LBB21_294
; %bb.295:
	s_or_b32 exec_lo, exec_lo, s3
.LBB21_296:
	s_delay_alu instid0(SALU_CYCLE_1) | instskip(NEXT) | instid1(VALU_DEP_2)
	s_or_b32 exec_lo, exec_lo, s0
	v_add_nc_u32_e32 v4, v6, v9
	s_wait_dscnt 0x0
	s_delay_alu instid0(VALU_DEP_1) | instskip(SKIP_1) | instid1(VALU_DEP_2)
	v_min_i32_e32 v5, v4, v1
	v_cmp_lt_i32_e32 vcc_lo, v1, v4
	v_dual_sub_nc_u32 v6, v8, v5 :: v_dual_add_nc_u32 v5, 1, v5
	s_delay_alu instid0(VALU_DEP_1) | instskip(NEXT) | instid1(VALU_DEP_2)
	v_add_nc_u32_e32 v1, v6, v3
	v_cmp_eq_u32_e64 s0, v6, v5
	s_and_b32 s0, vcc_lo, s0
	s_delay_alu instid0(SALU_CYCLE_1)
	v_cndmask_b32_e64 v4, 0, 1, s0
.LBB21_297:
	s_or_b32 exec_lo, exec_lo, s1
	v_sub_co_u32 v6, s1, v16, 1
	s_delay_alu instid0(VALU_DEP_2)
	v_add_nc_u32_e32 v2, v4, v2
	s_lshl_b32 s0, s31, 16
	s_delay_alu instid0(VALU_DEP_1) | instid1(SALU_CYCLE_1)
	v_dual_sub_nc_u32 v3, v2, v1 :: v_dual_bitop2_b32 v4, s0, v26 bitop3:0x54
	s_delay_alu instid0(VALU_DEP_1) | instskip(NEXT) | instid1(VALU_DEP_1)
	v_lshl_or_b32 v5, v1, 16, v3
	v_cndmask_b32_e64 v5, v5, v4, s1
	v_cndmask_b32_e64 v4, v6, 0xff, s1
	s_delay_alu instid0(VALU_DEP_1)
	v_dual_lshlrev_b32 v6, 2, v1 :: v_dual_lshlrev_b32 v7, 2, v4
	v_lshl_add_u32 v4, v3, 2, s2
	ds_store_b32 v7, v5
	s_wait_dscnt 0x0
	s_barrier_signal -1
	s_barrier_wait -1
	ds_load_b32 v0, v0
	ds_load_b32 v25, v6 offset:1024
	ds_load_b32 v26, v4 offset:1024
	s_wait_dscnt 0x2
	v_ashrrev_i32_e32 v23, 16, v0
	v_and_b32_e32 v5, 0xffff, v0
	s_wait_dscnt 0x0
	v_cmp_lt_i32_e32 vcc_lo, v26, v25
	v_mov_b32_e32 v27, v25
	v_cmp_le_i32_e64 s3, v23, v1
	v_cndmask_b32_e64 v0, 0, 1, vcc_lo
	v_cmp_le_i32_e32 vcc_lo, v5, v3
	s_delay_alu instid0(VALU_DEP_3)
	v_cndmask_b32_e64 v7, 0, 1, s3
	s_or_b32 s2, s3, vcc_lo
	s_delay_alu instid0(VALU_DEP_1) | instid1(SALU_CYCLE_1)
	v_cndmask_b32_e64 v0, v0, v7, s2
	s_delay_alu instid0(VALU_DEP_1) | instskip(NEXT) | instid1(VALU_DEP_1)
	v_and_b32_e32 v0, 1, v0
	v_cmp_eq_u32_e64 s0, 1, v0
	s_xor_b32 s5, s0, -1
	s_delay_alu instid0(SALU_CYCLE_1)
	s_and_saveexec_b32 s4, s5
; %bb.298:
	ds_load_b32 v27, v6 offset:1028
	v_add_nc_u32_e32 v1, 1, v1
; %bb.299:
	s_or_b32 exec_lo, exec_lo, s4
	s_xor_b32 s4, s3, -1
	v_cmp_lt_i32_e64 s3, v25, v26
	v_mov_b32_e32 v28, v26
	s_delay_alu instid0(VALU_DEP_2) | instskip(SKIP_1) | instid1(SALU_CYCLE_1)
	v_cndmask_b32_e64 v0, 0, 1, s3
	s_and_b32 s3, vcc_lo, s4
	v_cndmask_b32_e64 v6, 0, 1, s3
	s_delay_alu instid0(VALU_DEP_1) | instskip(NEXT) | instid1(VALU_DEP_1)
	v_cndmask_b32_e64 v0, v0, v6, s2
	v_and_b32_e32 v0, 1, v0
	s_delay_alu instid0(VALU_DEP_1) | instskip(SKIP_2) | instid1(SALU_CYCLE_1)
	v_cmp_eq_u32_e32 vcc_lo, 1, v0
	v_add_nc_u32_e32 v0, s31, v3
	s_xor_b32 s3, vcc_lo, -1
	s_and_saveexec_b32 s2, s3
; %bb.300:
	ds_load_b32 v28, v4 offset:1028
	v_add_nc_u32_e32 v0, 1, v0
; %bb.301:
	s_or_b32 exec_lo, exec_lo, s2
	v_cmp_ge_i32_e32 vcc_lo, v1, v23
	s_wait_dscnt 0x0
	v_cmp_lt_i32_e64 s2, v28, v27
	v_mov_b32_e32 v29, v27
	v_cndmask_b32_e64 v3, 0, 1, vcc_lo
	s_delay_alu instid0(VALU_DEP_3) | instskip(SKIP_1) | instid1(VALU_DEP_1)
	v_cndmask_b32_e64 v4, 0, 1, s2
	v_add_nc_u32_e32 v24, s31, v5
	v_cmp_ge_i32_e64 s3, v0, v24
	s_or_b32 s2, vcc_lo, s3
	s_delay_alu instid0(SALU_CYCLE_1) | instskip(NEXT) | instid1(VALU_DEP_1)
	v_cndmask_b32_e64 v3, v4, v3, s2
	v_and_b32_e32 v3, 1, v3
	s_delay_alu instid0(VALU_DEP_1) | instskip(SKIP_2) | instid1(SALU_CYCLE_1)
	v_cmp_eq_u32_e64 s2, 1, v3
	v_mov_b32_e32 v3, v1
	s_xor_b32 s5, s2, -1
	s_and_saveexec_b32 s4, s5
; %bb.302:
	v_lshlrev_b32_e32 v3, 2, v1
	ds_load_b32 v29, v3 offset:1028
	v_add_nc_u32_e32 v3, 1, v1
; %bb.303:
	s_or_b32 exec_lo, exec_lo, s4
	v_cmp_lt_i32_e64 s4, v27, v28
	s_xor_b32 s5, vcc_lo, -1
	v_dual_mov_b32 v30, v28 :: v_dual_mov_b32 v4, v0
	s_or_b32 s3, s3, s4
	s_delay_alu instid0(SALU_CYCLE_1) | instskip(NEXT) | instid1(SALU_CYCLE_1)
	s_and_b32 s3, s5, s3
	s_xor_b32 s4, s3, -1
	s_delay_alu instid0(SALU_CYCLE_1)
	s_and_saveexec_b32 s3, s4
; %bb.304:
	v_lshlrev_b32_e32 v4, 2, v0
	ds_load_b32 v30, v4 offset:1028
	v_add_nc_u32_e32 v4, 1, v0
; %bb.305:
	s_or_b32 exec_lo, exec_lo, s3
	v_cmp_ge_i32_e64 s4, v3, v23
	s_wait_dscnt 0x0
	v_cmp_lt_i32_e64 s3, v30, v29
	v_cmp_ge_i32_e32 vcc_lo, v4, v24
	v_mov_b32_e32 v31, v29
	v_cndmask_b32_e64 v5, 0, 1, s4
	s_delay_alu instid0(VALU_DEP_4)
	v_cndmask_b32_e64 v6, 0, 1, s3
	s_or_b32 s3, s4, vcc_lo
	s_delay_alu instid0(VALU_DEP_1) | instid1(SALU_CYCLE_1)
	v_cndmask_b32_e64 v5, v6, v5, s3
	s_delay_alu instid0(VALU_DEP_1) | instskip(NEXT) | instid1(VALU_DEP_1)
	v_and_b32_e32 v5, 1, v5
	v_cmp_eq_u32_e64 s3, 1, v5
	v_mov_b32_e32 v5, v3
	s_xor_b32 s6, s3, -1
	s_delay_alu instid0(SALU_CYCLE_1)
	s_and_saveexec_b32 s5, s6
; %bb.306:
	v_lshlrev_b32_e32 v5, 2, v3
	ds_load_b32 v31, v5 offset:1028
	v_add_nc_u32_e32 v5, 1, v3
; %bb.307:
	s_or_b32 exec_lo, exec_lo, s5
	v_cmp_lt_i32_e64 s5, v29, v30
	s_xor_b32 s4, s4, -1
	v_dual_mov_b32 v32, v30 :: v_dual_mov_b32 v6, v4
	s_or_b32 s5, vcc_lo, s5
	s_delay_alu instid0(SALU_CYCLE_1) | instskip(NEXT) | instid1(SALU_CYCLE_1)
	s_and_b32 s4, s4, s5
	s_xor_b32 s5, s4, -1
	s_delay_alu instid0(SALU_CYCLE_1)
	s_and_saveexec_b32 s4, s5
; %bb.308:
	v_lshlrev_b32_e32 v6, 2, v4
	ds_load_b32 v32, v6 offset:1028
	v_add_nc_u32_e32 v6, 1, v4
; %bb.309:
	s_or_b32 exec_lo, exec_lo, s4
	v_cmp_ge_i32_e64 s5, v5, v23
	s_wait_dscnt 0x0
	v_cmp_lt_i32_e64 s4, v32, v31
	v_cmp_ge_i32_e32 vcc_lo, v6, v24
	v_mov_b32_e32 v33, v31
	v_cndmask_b32_e64 v7, 0, 1, s5
	s_delay_alu instid0(VALU_DEP_4)
	v_cndmask_b32_e64 v8, 0, 1, s4
	s_or_b32 s4, s5, vcc_lo
	s_delay_alu instid0(VALU_DEP_1) | instid1(SALU_CYCLE_1)
	v_cndmask_b32_e64 v7, v8, v7, s4
	s_delay_alu instid0(VALU_DEP_1) | instskip(NEXT) | instid1(VALU_DEP_1)
	v_and_b32_e32 v7, 1, v7
	v_cmp_eq_u32_e64 s4, 1, v7
	v_mov_b32_e32 v7, v5
	s_xor_b32 s7, s4, -1
	s_delay_alu instid0(SALU_CYCLE_1)
	s_and_saveexec_b32 s6, s7
; %bb.310:
	v_lshlrev_b32_e32 v7, 2, v5
	ds_load_b32 v33, v7 offset:1028
	v_add_nc_u32_e32 v7, 1, v5
; %bb.311:
	s_or_b32 exec_lo, exec_lo, s6
	v_cmp_lt_i32_e64 s6, v31, v32
	s_xor_b32 s5, s5, -1
	v_dual_mov_b32 v34, v32 :: v_dual_mov_b32 v8, v6
	s_or_b32 s6, vcc_lo, s6
	;; [unrolled: 39-line block ×5, first 2 shown]
	s_delay_alu instid0(SALU_CYCLE_1) | instskip(NEXT) | instid1(SALU_CYCLE_1)
	s_and_b32 s8, s8, s9
	s_xor_b32 s9, s8, -1
	s_delay_alu instid0(SALU_CYCLE_1)
	s_and_saveexec_b32 s8, s9
; %bb.324:
	v_dual_lshlrev_b32 v14, 2, v12 :: v_dual_add_nc_u32 v15, 1, v12
	ds_load_b32 v40, v14 offset:1028
; %bb.325:
	s_or_b32 exec_lo, exec_lo, s8
	v_cmp_ge_i32_e64 s9, v13, v23
	s_wait_dscnt 0x0
	v_cmp_lt_i32_e64 s8, v40, v39
	v_cmp_ge_i32_e32 vcc_lo, v15, v24
	v_mov_b32_e32 v41, v39
	v_cndmask_b32_e64 v14, 0, 1, s9
	s_delay_alu instid0(VALU_DEP_4)
	v_cndmask_b32_e64 v18, 0, 1, s8
	s_or_b32 s8, s9, vcc_lo
	s_delay_alu instid0(VALU_DEP_1) | instid1(SALU_CYCLE_1)
	v_cndmask_b32_e64 v14, v18, v14, s8
	s_delay_alu instid0(VALU_DEP_1) | instskip(NEXT) | instid1(VALU_DEP_1)
	v_and_b32_e32 v14, 1, v14
	v_cmp_eq_u32_e64 s8, 1, v14
	v_mov_b32_e32 v14, v13
	s_xor_b32 s11, s8, -1
	s_delay_alu instid0(SALU_CYCLE_1)
	s_and_saveexec_b32 s10, s11
; %bb.326:
	v_lshlrev_b32_e32 v14, 2, v13
	ds_load_b32 v41, v14 offset:1028
	v_add_nc_u32_e32 v14, 1, v13
; %bb.327:
	s_or_b32 exec_lo, exec_lo, s10
	v_cmp_lt_i32_e64 s10, v39, v40
	s_xor_b32 s9, s9, -1
	v_dual_mov_b32 v42, v40 :: v_dual_mov_b32 v18, v15
	s_or_b32 s10, vcc_lo, s10
	s_delay_alu instid0(SALU_CYCLE_1) | instskip(NEXT) | instid1(SALU_CYCLE_1)
	s_and_b32 s9, s9, s10
	s_xor_b32 s10, s9, -1
	s_delay_alu instid0(SALU_CYCLE_1)
	s_and_saveexec_b32 s9, s10
; %bb.328:
	v_lshlrev_b32_e32 v18, 2, v15
	ds_load_b32 v42, v18 offset:1028
	v_add_nc_u32_e32 v18, 1, v15
; %bb.329:
	s_or_b32 exec_lo, exec_lo, s9
	v_cmp_ge_i32_e64 s10, v14, v23
	s_wait_dscnt 0x0
	v_cmp_lt_i32_e64 s9, v42, v41
	v_cmp_ge_i32_e32 vcc_lo, v18, v24
	v_mov_b32_e32 v43, v41
	v_cndmask_b32_e64 v19, 0, 1, s10
	s_delay_alu instid0(VALU_DEP_4)
	v_cndmask_b32_e64 v20, 0, 1, s9
	s_or_b32 s9, s10, vcc_lo
	s_delay_alu instid0(VALU_DEP_1) | instid1(SALU_CYCLE_1)
	v_cndmask_b32_e64 v19, v20, v19, s9
	s_delay_alu instid0(VALU_DEP_1) | instskip(NEXT) | instid1(VALU_DEP_1)
	v_and_b32_e32 v19, 1, v19
	v_cmp_eq_u32_e64 s9, 1, v19
	v_mov_b32_e32 v19, v14
	s_xor_b32 s12, s9, -1
	s_delay_alu instid0(SALU_CYCLE_1)
	s_and_saveexec_b32 s11, s12
; %bb.330:
	v_lshlrev_b32_e32 v19, 2, v14
	ds_load_b32 v43, v19 offset:1028
	v_add_nc_u32_e32 v19, 1, v14
; %bb.331:
	s_or_b32 exec_lo, exec_lo, s11
	v_cmp_lt_i32_e64 s11, v41, v42
	s_xor_b32 s10, s10, -1
	v_dual_mov_b32 v44, v42 :: v_dual_mov_b32 v20, v18
	s_or_b32 s11, vcc_lo, s11
	s_delay_alu instid0(SALU_CYCLE_1) | instskip(NEXT) | instid1(SALU_CYCLE_1)
	s_and_b32 s10, s10, s11
	s_xor_b32 s11, s10, -1
	s_delay_alu instid0(SALU_CYCLE_1)
	s_and_saveexec_b32 s10, s11
; %bb.332:
	v_lshlrev_b32_e32 v20, 2, v18
	ds_load_b32 v44, v20 offset:1028
	v_add_nc_u32_e32 v20, 1, v18
; %bb.333:
	s_or_b32 exec_lo, exec_lo, s10
	v_cmp_ge_i32_e64 s11, v19, v23
	s_wait_dscnt 0x0
	v_cmp_lt_i32_e64 s10, v44, v43
	v_cmp_ge_i32_e32 vcc_lo, v20, v24
	s_delay_alu instid0(VALU_DEP_3) | instskip(NEXT) | instid1(VALU_DEP_3)
	v_cndmask_b32_e64 v21, 0, 1, s11
	v_cndmask_b32_e64 v45, 0, 1, s10
	s_or_b32 s10, s11, vcc_lo
	s_delay_alu instid0(VALU_DEP_1) | instid1(SALU_CYCLE_1)
	v_dual_cndmask_b32 v21, v45, v21, s10 :: v_dual_mov_b32 v45, v43
	s_delay_alu instid0(VALU_DEP_1) | instskip(NEXT) | instid1(VALU_DEP_1)
	v_and_b32_e32 v21, 1, v21
	v_cmp_eq_u32_e64 s10, 1, v21
	v_mov_b32_e32 v21, v19
	s_xor_b32 s13, s10, -1
	s_delay_alu instid0(SALU_CYCLE_1)
	s_and_saveexec_b32 s12, s13
; %bb.334:
	v_lshlrev_b32_e32 v21, 2, v19
	ds_load_b32 v45, v21 offset:1028
	v_add_nc_u32_e32 v21, 1, v19
; %bb.335:
	s_or_b32 exec_lo, exec_lo, s12
	v_cmp_lt_i32_e64 s12, v43, v44
	s_xor_b32 s11, s11, -1
	v_dual_mov_b32 v46, v44 :: v_dual_mov_b32 v59, v20
	s_or_b32 s12, vcc_lo, s12
	s_delay_alu instid0(SALU_CYCLE_1) | instskip(NEXT) | instid1(SALU_CYCLE_1)
	s_and_b32 s11, s11, s12
	s_xor_b32 s12, s11, -1
	s_delay_alu instid0(SALU_CYCLE_1)
	s_and_saveexec_b32 s11, s12
; %bb.336:
	v_dual_lshlrev_b32 v46, 2, v20 :: v_dual_add_nc_u32 v59, 1, v20
	ds_load_b32 v46, v46 offset:1028
; %bb.337:
	s_or_b32 exec_lo, exec_lo, s11
	v_cmp_ge_i32_e64 s12, v21, v23
	s_wait_dscnt 0x0
	v_cmp_lt_i32_e64 s11, v46, v45
	v_cmp_ge_i32_e32 vcc_lo, v59, v24
	v_mov_b32_e32 v60, v21
	v_cndmask_b32_e64 v47, 0, 1, s12
	s_delay_alu instid0(VALU_DEP_4)
	v_cndmask_b32_e64 v48, 0, 1, s11
	s_or_b32 s11, s12, vcc_lo
	s_delay_alu instid0(VALU_DEP_1) | instid1(SALU_CYCLE_1)
	v_cndmask_b32_e64 v47, v48, v47, s11
	s_delay_alu instid0(VALU_DEP_1) | instskip(NEXT) | instid1(VALU_DEP_1)
	v_and_b32_e32 v47, 1, v47
	v_cmp_eq_u32_e64 s11, 1, v47
	v_mov_b32_e32 v47, v45
	s_xor_b32 s14, s11, -1
	s_delay_alu instid0(SALU_CYCLE_1)
	s_and_saveexec_b32 s13, s14
; %bb.338:
	v_dual_lshlrev_b32 v47, 2, v21 :: v_dual_add_nc_u32 v60, 1, v21
	ds_load_b32 v47, v47 offset:1028
; %bb.339:
	s_or_b32 exec_lo, exec_lo, s13
	v_cmp_lt_i32_e64 s13, v45, v46
	s_xor_b32 s12, s12, -1
	v_dual_mov_b32 v48, v46 :: v_dual_mov_b32 v61, v59
	s_or_b32 s13, vcc_lo, s13
	s_delay_alu instid0(SALU_CYCLE_1) | instskip(NEXT) | instid1(SALU_CYCLE_1)
	s_and_b32 s12, s12, s13
	s_xor_b32 s13, s12, -1
	s_delay_alu instid0(SALU_CYCLE_1)
	s_and_saveexec_b32 s12, s13
; %bb.340:
	v_dual_lshlrev_b32 v48, 2, v59 :: v_dual_add_nc_u32 v61, 1, v59
	ds_load_b32 v48, v48 offset:1028
; %bb.341:
	s_or_b32 exec_lo, exec_lo, s12
	v_cmp_ge_i32_e64 s13, v60, v23
	s_wait_dscnt 0x0
	v_cmp_lt_i32_e64 s12, v48, v47
	v_cmp_ge_i32_e32 vcc_lo, v61, v24
	v_mov_b32_e32 v62, v60
	v_cndmask_b32_e64 v49, 0, 1, s13
	s_delay_alu instid0(VALU_DEP_4)
	v_cndmask_b32_e64 v50, 0, 1, s12
	s_or_b32 s12, s13, vcc_lo
	s_delay_alu instid0(VALU_DEP_1) | instid1(SALU_CYCLE_1)
	v_cndmask_b32_e64 v49, v50, v49, s12
	s_delay_alu instid0(VALU_DEP_1) | instskip(NEXT) | instid1(VALU_DEP_1)
	v_and_b32_e32 v49, 1, v49
	v_cmp_eq_u32_e64 s12, 1, v49
	v_mov_b32_e32 v49, v47
	s_xor_b32 s15, s12, -1
	s_delay_alu instid0(SALU_CYCLE_1)
	s_and_saveexec_b32 s14, s15
; %bb.342:
	v_dual_lshlrev_b32 v49, 2, v60 :: v_dual_add_nc_u32 v62, 1, v60
	ds_load_b32 v49, v49 offset:1028
	;; [unrolled: 37-line block ×4, first 2 shown]
; %bb.351:
	s_or_b32 exec_lo, exec_lo, s16
	v_cmp_lt_i32_e64 s16, v51, v52
	s_xor_b32 s15, s15, -1
	v_dual_mov_b32 v54, v52 :: v_dual_mov_b32 v67, v65
	s_or_b32 s16, vcc_lo, s16
	s_delay_alu instid0(SALU_CYCLE_1) | instskip(NEXT) | instid1(SALU_CYCLE_1)
	s_and_b32 s15, s15, s16
	s_xor_b32 s16, s15, -1
	s_delay_alu instid0(SALU_CYCLE_1)
	s_and_saveexec_b32 s15, s16
; %bb.352:
	v_dual_lshlrev_b32 v54, 2, v65 :: v_dual_add_nc_u32 v67, 1, v65
	ds_load_b32 v54, v54 offset:1028
; %bb.353:
	s_or_b32 exec_lo, exec_lo, s15
	v_cmp_ge_i32_e32 vcc_lo, v66, v23
	s_wait_dscnt 0x0
	v_cmp_lt_i32_e64 s15, v54, v53
	v_cmp_ge_i32_e64 s16, v67, v24
	v_cndmask_b32_e64 v55, 0, 1, vcc_lo
	s_delay_alu instid0(VALU_DEP_3)
	v_cndmask_b32_e64 v56, 0, 1, s15
	s_or_b32 s15, vcc_lo, s16
	s_delay_alu instid0(VALU_DEP_1) | instid1(SALU_CYCLE_1)
	v_dual_cndmask_b32 v55, v56, v55, s15 :: v_dual_mov_b32 v56, v66
	s_delay_alu instid0(VALU_DEP_1) | instskip(NEXT) | instid1(VALU_DEP_1)
	v_and_b32_e32 v55, 1, v55
	v_cmp_eq_u32_e64 s15, 1, v55
	v_mov_b32_e32 v55, v53
	s_xor_b32 s18, s15, -1
	s_delay_alu instid0(SALU_CYCLE_1)
	s_and_saveexec_b32 s17, s18
; %bb.354:
	v_dual_lshlrev_b32 v55, 2, v66 :: v_dual_add_nc_u32 v56, 1, v66
	ds_load_b32 v55, v55 offset:1028
; %bb.355:
	s_or_b32 exec_lo, exec_lo, s17
	v_cmp_lt_i32_e64 s17, v53, v54
	s_xor_b32 s18, vcc_lo, -1
	v_dual_mov_b32 v57, v54 :: v_dual_mov_b32 v58, v67
	s_or_b32 s16, s16, s17
	s_delay_alu instid0(SALU_CYCLE_1) | instskip(NEXT) | instid1(SALU_CYCLE_1)
	s_and_b32 s16, s18, s16
	s_xor_b32 s17, s16, -1
	s_delay_alu instid0(SALU_CYCLE_1)
	s_and_saveexec_b32 s16, s17
; %bb.356:
	v_dual_lshlrev_b32 v57, 2, v67 :: v_dual_add_nc_u32 v58, 1, v67
	ds_load_b32 v57, v57 offset:1028
; %bb.357:
	s_or_b32 exec_lo, exec_lo, s16
	v_dual_add_nc_u32 v68, v58, v56 :: v_dual_add_nc_u32 v69, v24, v23
	v_dual_add_nc_u32 v13, v15, v13 :: v_dual_add_nc_u32 v3, v4, v3
	;; [unrolled: 1-line block ×4, first 2 shown]
	v_add_nc_u32_e32 v1, v6, v5
	s_delay_alu instid0(VALU_DEP_4) | instskip(NEXT) | instid1(VALU_DEP_4)
	v_cmp_lt_i32_e64 s19, v3, v69
	v_cmp_lt_i32_e64 s20, v0, v69
	;; [unrolled: 1-line block ×3, first 2 shown]
	v_dual_add_nc_u32 v21, v59, v21 :: v_dual_add_nc_u32 v11, v12, v11
	s_delay_alu instid0(VALU_DEP_4) | instskip(NEXT) | instid1(VALU_DEP_4)
	v_cndmask_b32_e64 v3, 0, 4, s19
	v_cndmask_b32_e64 v0, 0, 2, s20
	s_delay_alu instid0(VALU_DEP_4)
	v_cndmask_b32_e64 v2, 0, 1, s21
	v_cmp_lt_i32_e64 s17, v4, v69
	v_cmp_lt_i32_e64 s18, v1, v69
	v_cmp_lt_i32_e32 vcc_lo, v11, v69
	v_cmp_lt_i32_e64 s16, v9, v69
	v_or3_b32 v0, v0, v2, v3
	v_cndmask_b32_e64 v4, 0, 16, s17
	v_cndmask_b32_e64 v1, 0, 8, s18
	v_cndmask_b32_e64 v2, 0, 64, vcc_lo
	v_cmp_lt_i32_e32 vcc_lo, v13, v69
	v_cndmask_b32_e64 v3, 0, 32, s16
	v_dual_add_nc_u32 v66, v67, v66 :: v_dual_add_nc_u32 v65, v65, v64
	v_or3_b32 v0, v0, v1, v4
	v_dual_add_nc_u32 v1, v20, v19 :: v_dual_add_nc_u32 v4, v18, v14
	v_cndmask_b32_e64 v5, 0, 0x80, vcc_lo
	v_dual_add_nc_u32 v67, v63, v62 :: v_dual_add_nc_u32 v60, v61, v60
	s_delay_alu instid0(VALU_DEP_3)
	v_cmp_lt_i32_e32 vcc_lo, v1, v69
	v_or3_b32 v64, v0, v3, v2
	v_mov_b32_e32 v9, 0
	s_cmp_lg_u32 s30, 0
	s_wait_dscnt 0x0
	v_cndmask_b32_e64 v0, 0, 0x200, vcc_lo
	v_cmp_lt_i32_e32 vcc_lo, v4, v69
	v_or_b32_e32 v63, v5, v64
	s_barrier_signal -1
	s_barrier_wait -1
	v_cndmask_b32_e64 v1, 0, 0x100, vcc_lo
	v_cmp_lt_i32_e32 vcc_lo, v60, v69
	s_delay_alu instid0(VALU_DEP_2)
	v_or3_b32 v62, v1, v0, v63
	v_cndmask_b32_e64 v2, 0, 0x800, vcc_lo
	v_cmp_lt_i32_e32 vcc_lo, v21, v69
	v_cndmask_b32_e64 v3, 0, 0x400, vcc_lo
	v_cmp_lt_i32_e32 vcc_lo, v65, v69
	v_mbcnt_lo_u32_b32 v65, -1, 0
	s_delay_alu instid0(VALU_DEP_3) | instskip(SKIP_4) | instid1(VALU_DEP_2)
	v_or3_b32 v61, v3, v2, v62
	v_cndmask_b32_e64 v0, 0, 0x2000, vcc_lo
	v_cmp_lt_i32_e32 vcc_lo, v67, v69
	v_cndmask_b32_e64 v1, 0, 0x1000, vcc_lo
	v_cmp_lt_i32_e32 vcc_lo, v68, v69
	v_or3_b32 v60, v1, v0, v61
	v_cndmask_b32_e64 v2, 0, 0x8000, vcc_lo
	v_cmp_lt_i32_e32 vcc_lo, v66, v69
	v_cndmask_b32_e64 v3, 0, 0x4000, vcc_lo
	s_delay_alu instid0(VALU_DEP_1) | instskip(NEXT) | instid1(VALU_DEP_1)
	v_or3_b32 v59, v3, v2, v60
	v_bcnt_u32_b32 v8, v59, 0
	s_cbranch_scc0 .LBB21_414
; %bb.358:
	s_delay_alu instid0(VALU_DEP_1)
	v_mov_b64_e32 v[2:3], v[8:9]
	v_dual_mov_b32 v0, v8 :: v_dual_bitop2_b32 v10, 15, v65 bitop3:0x40
	v_mov_b32_dpp v4, v8 row_shr:1 row_mask:0xf bank_mask:0xf
	v_mov_b32_dpp v7, v9 row_shr:1 row_mask:0xf bank_mask:0xf
	v_mov_b32_e32 v5, v9
	s_mov_b32 s22, exec_lo
	v_cmpx_ne_u32_e32 0, v10
; %bb.359:
	v_mov_b32_e32 v6, 0
	s_delay_alu instid0(VALU_DEP_1) | instskip(NEXT) | instid1(VALU_DEP_1)
	v_mov_b32_e32 v5, v6
	v_add_nc_u64_e32 v[0:1], v[4:5], v[8:9]
	s_delay_alu instid0(VALU_DEP_1) | instskip(NEXT) | instid1(VALU_DEP_1)
	v_add_nc_u64_e32 v[4:5], v[6:7], v[0:1]
	v_mov_b64_e32 v[2:3], v[4:5]
; %bb.360:
	s_or_b32 exec_lo, exec_lo, s22
	v_mov_b32_dpp v4, v0 row_shr:2 row_mask:0xf bank_mask:0xf
	v_mov_b32_dpp v7, v5 row_shr:2 row_mask:0xf bank_mask:0xf
	s_mov_b32 s22, exec_lo
	v_cmpx_lt_u32_e32 1, v10
; %bb.361:
	v_mov_b32_e32 v6, 0
	s_delay_alu instid0(VALU_DEP_1) | instskip(NEXT) | instid1(VALU_DEP_1)
	v_mov_b32_e32 v5, v6
	v_add_nc_u64_e32 v[0:1], v[2:3], v[4:5]
	s_delay_alu instid0(VALU_DEP_1) | instskip(NEXT) | instid1(VALU_DEP_1)
	v_add_nc_u64_e32 v[4:5], v[6:7], v[0:1]
	v_mov_b64_e32 v[2:3], v[4:5]
; %bb.362:
	s_or_b32 exec_lo, exec_lo, s22
	v_mov_b32_dpp v4, v0 row_shr:4 row_mask:0xf bank_mask:0xf
	v_mov_b32_dpp v7, v5 row_shr:4 row_mask:0xf bank_mask:0xf
	s_mov_b32 s22, exec_lo
	v_cmpx_lt_u32_e32 3, v10
	;; [unrolled: 14-line block ×3, first 2 shown]
; %bb.365:
	v_mov_b32_e32 v6, 0
	s_delay_alu instid0(VALU_DEP_1) | instskip(NEXT) | instid1(VALU_DEP_1)
	v_mov_b32_e32 v5, v6
	v_add_nc_u64_e32 v[0:1], v[2:3], v[4:5]
	s_delay_alu instid0(VALU_DEP_1) | instskip(NEXT) | instid1(VALU_DEP_1)
	v_add_nc_u64_e32 v[2:3], v[6:7], v[0:1]
	v_mov_b32_e32 v5, v3
; %bb.366:
	s_or_b32 exec_lo, exec_lo, s22
	ds_swizzle_b32 v4, v0 offset:swizzle(BROADCAST,32,15)
	ds_swizzle_b32 v7, v5 offset:swizzle(BROADCAST,32,15)
	v_and_b32_e32 v1, 16, v65
	s_mov_b32 s22, exec_lo
	s_delay_alu instid0(VALU_DEP_1)
	v_cmpx_ne_u32_e32 0, v1
	s_cbranch_execz .LBB21_368
; %bb.367:
	v_mov_b32_e32 v6, 0
	s_delay_alu instid0(VALU_DEP_1) | instskip(SKIP_1) | instid1(VALU_DEP_1)
	v_mov_b32_e32 v5, v6
	s_wait_dscnt 0x1
	v_add_nc_u64_e32 v[0:1], v[2:3], v[4:5]
	s_wait_dscnt 0x0
	s_delay_alu instid0(VALU_DEP_1)
	v_add_nc_u64_e32 v[2:3], v[6:7], v[0:1]
.LBB21_368:
	s_or_b32 exec_lo, exec_lo, s22
	v_and_b32_e32 v1, 0x3e0, v16
	s_mov_b32 s22, exec_lo
	s_delay_alu instid0(VALU_DEP_1) | instskip(SKIP_1) | instid1(VALU_DEP_1)
	v_min_u32_e32 v1, 0xe0, v1
	s_wait_dscnt 0x1
	v_dual_lshrrev_b32 v1, 5, v16 :: v_dual_bitop2_b32 v4, 31, v1 bitop3:0x54
	s_delay_alu instid0(VALU_DEP_1)
	v_cmpx_eq_u32_e64 v16, v4
; %bb.369:
	s_delay_alu instid0(VALU_DEP_2)
	v_lshlrev_b32_e32 v4, 3, v1
	ds_store_b64 v4, v[2:3]
; %bb.370:
	s_or_b32 exec_lo, exec_lo, s22
	s_delay_alu instid0(SALU_CYCLE_1)
	s_mov_b32 s22, exec_lo
	s_wait_dscnt 0x0
	s_barrier_signal -1
	s_barrier_wait -1
	v_cmpx_gt_u32_e32 8, v16
	s_cbranch_execz .LBB21_378
; %bb.371:
	v_dual_lshlrev_b32 v12, 3, v16 :: v_dual_bitop2_b32 v13, 7, v65 bitop3:0x40
	s_mov_b32 s23, exec_lo
	ds_load_b64 v[2:3], v12
	s_wait_dscnt 0x0
	v_mov_b32_dpp v6, v2 row_shr:1 row_mask:0xf bank_mask:0xf
	v_mov_b32_dpp v11, v3 row_shr:1 row_mask:0xf bank_mask:0xf
	v_mov_b32_e32 v4, v2
	v_cmpx_ne_u32_e32 0, v13
; %bb.372:
	v_mov_b32_e32 v10, 0
	s_delay_alu instid0(VALU_DEP_1) | instskip(NEXT) | instid1(VALU_DEP_1)
	v_mov_b32_e32 v7, v10
	v_add_nc_u64_e32 v[4:5], v[2:3], v[6:7]
	s_delay_alu instid0(VALU_DEP_1)
	v_add_nc_u64_e32 v[2:3], v[10:11], v[4:5]
; %bb.373:
	s_or_b32 exec_lo, exec_lo, s23
	v_mov_b32_dpp v6, v4 row_shr:2 row_mask:0xf bank_mask:0xf
	s_delay_alu instid0(VALU_DEP_2)
	v_mov_b32_dpp v11, v3 row_shr:2 row_mask:0xf bank_mask:0xf
	s_mov_b32 s23, exec_lo
	v_cmpx_lt_u32_e32 1, v13
; %bb.374:
	v_mov_b32_e32 v10, 0
	s_delay_alu instid0(VALU_DEP_1) | instskip(NEXT) | instid1(VALU_DEP_1)
	v_mov_b32_e32 v7, v10
	v_add_nc_u64_e32 v[4:5], v[2:3], v[6:7]
	s_delay_alu instid0(VALU_DEP_1)
	v_add_nc_u64_e32 v[2:3], v[10:11], v[4:5]
; %bb.375:
	s_or_b32 exec_lo, exec_lo, s23
	v_mov_b32_dpp v4, v4 row_shr:4 row_mask:0xf bank_mask:0xf
	s_delay_alu instid0(VALU_DEP_2)
	v_mov_b32_dpp v7, v3 row_shr:4 row_mask:0xf bank_mask:0xf
	s_mov_b32 s23, exec_lo
	v_cmpx_lt_u32_e32 3, v13
; %bb.376:
	v_mov_b32_e32 v6, 0
	s_delay_alu instid0(VALU_DEP_1) | instskip(NEXT) | instid1(VALU_DEP_1)
	v_mov_b32_e32 v5, v6
	v_add_nc_u64_e32 v[2:3], v[2:3], v[4:5]
	s_delay_alu instid0(VALU_DEP_1)
	v_add_nc_u64_e32 v[2:3], v[2:3], v[6:7]
; %bb.377:
	s_or_b32 exec_lo, exec_lo, s23
	ds_store_b64 v12, v[2:3]
.LBB21_378:
	s_or_b32 exec_lo, exec_lo, s22
	s_delay_alu instid0(SALU_CYCLE_1)
	s_mov_b32 s23, exec_lo
	v_cmp_gt_u32_e32 vcc_lo, 32, v16
	s_wait_dscnt 0x0
	s_barrier_signal -1
	s_barrier_wait -1
                                        ; implicit-def: $vgpr10_vgpr11
	v_cmpx_lt_u32_e32 31, v16
	s_cbranch_execz .LBB21_380
; %bb.379:
	v_lshl_add_u32 v1, v1, 3, -8
	ds_load_b64 v[10:11], v1
	s_wait_dscnt 0x0
	v_add_nc_u32_e32 v0, v0, v10
.LBB21_380:
	s_or_b32 exec_lo, exec_lo, s23
	v_sub_co_u32 v1, s22, v65, 1
	s_delay_alu instid0(VALU_DEP_1) | instskip(NEXT) | instid1(VALU_DEP_1)
	v_cmp_gt_i32_e64 s23, 0, v1
	v_cndmask_b32_e64 v1, v1, v65, s23
	s_delay_alu instid0(VALU_DEP_1)
	v_lshlrev_b32_e32 v1, 2, v1
	ds_bpermute_b32 v66, v1, v0
	s_and_saveexec_b32 s23, vcc_lo
	s_cbranch_execz .LBB21_419
; %bb.381:
	v_mov_b32_e32 v3, 0
	ds_load_b64 v[0:1], v3 offset:56
	s_and_saveexec_b32 s26, s22
	s_cbranch_execz .LBB21_383
; %bb.382:
	s_add_co_i32 s34, s30, 32
	s_mov_b32 s35, 0
	v_mov_b32_e32 v2, 1
	s_lshl_b64 s[34:35], s[34:35], 4
	s_delay_alu instid0(SALU_CYCLE_1) | instskip(NEXT) | instid1(SALU_CYCLE_1)
	s_add_nc_u64 s[34:35], s[28:29], s[34:35]
	v_mov_b64_e32 v[4:5], s[34:35]
	s_wait_dscnt 0x0
	;;#ASMSTART
	global_store_b128 v[4:5], v[0:3] off scope:SCOPE_DEV	
s_wait_storecnt 0x0
	;;#ASMEND
.LBB21_383:
	s_or_b32 exec_lo, exec_lo, s26
	v_xad_u32 v12, v65, -1, s30
	s_mov_b32 s27, 0
	s_mov_b32 s26, exec_lo
	s_delay_alu instid0(VALU_DEP_1) | instskip(NEXT) | instid1(VALU_DEP_1)
	v_add_nc_u32_e32 v2, 32, v12
	v_lshl_add_u64 v[2:3], v[2:3], 4, s[28:29]
	;;#ASMSTART
	global_load_b128 v[4:7], v[2:3] off scope:SCOPE_DEV	
s_wait_loadcnt 0x0
	;;#ASMEND
	v_and_b32_e32 v7, 0xff, v6
	s_delay_alu instid0(VALU_DEP_1)
	v_cmpx_eq_u16_e32 0, v7
	s_cbranch_execz .LBB21_386
.LBB21_384:                             ; =>This Inner Loop Header: Depth=1
	;;#ASMSTART
	global_load_b128 v[4:7], v[2:3] off scope:SCOPE_DEV	
s_wait_loadcnt 0x0
	;;#ASMEND
	v_and_b32_e32 v7, 0xff, v6
	s_delay_alu instid0(VALU_DEP_1) | instskip(SKIP_1) | instid1(SALU_CYCLE_1)
	v_cmp_ne_u16_e32 vcc_lo, 0, v7
	s_or_b32 s27, vcc_lo, s27
	s_and_not1_b32 exec_lo, exec_lo, s27
	s_cbranch_execnz .LBB21_384
; %bb.385:
	s_or_b32 exec_lo, exec_lo, s27
.LBB21_386:
	s_delay_alu instid0(SALU_CYCLE_1)
	s_or_b32 exec_lo, exec_lo, s26
	v_cmp_ne_u32_e32 vcc_lo, 31, v65
	v_and_b32_e32 v3, 0xff, v6
	v_lshlrev_b32_e64 v68, v65, -1
	s_mov_b32 s26, exec_lo
	v_add_co_ci_u32_e64 v2, null, 0, v65, vcc_lo
	s_delay_alu instid0(VALU_DEP_3) | instskip(NEXT) | instid1(VALU_DEP_2)
	v_cmp_eq_u16_e32 vcc_lo, 2, v3
	v_lshlrev_b32_e32 v67, 2, v2
	v_and_or_b32 v2, vcc_lo, v68, 0x80000000
	s_delay_alu instid0(VALU_DEP_1)
	v_ctz_i32_b32_e32 v7, v2
	v_mov_b32_e32 v2, v4
	ds_bpermute_b32 v14, v67, v4
	ds_bpermute_b32 v19, v67, v5
	v_cmpx_lt_u32_e64 v65, v7
	s_cbranch_execz .LBB21_388
; %bb.387:
	v_mov_b32_e32 v18, 0
	s_delay_alu instid0(VALU_DEP_1) | instskip(SKIP_1) | instid1(VALU_DEP_1)
	v_mov_b32_e32 v15, v18
	s_wait_dscnt 0x1
	v_add_nc_u64_e32 v[2:3], v[4:5], v[14:15]
	s_wait_dscnt 0x0
	s_delay_alu instid0(VALU_DEP_1)
	v_add_nc_u64_e32 v[4:5], v[18:19], v[2:3]
.LBB21_388:
	s_or_b32 exec_lo, exec_lo, s26
	v_cmp_gt_u32_e32 vcc_lo, 30, v65
	v_add_nc_u32_e32 v70, 2, v65
	s_mov_b32 s26, exec_lo
	v_cndmask_b32_e64 v3, 0, 2, vcc_lo
	s_delay_alu instid0(VALU_DEP_1)
	v_add_lshl_u32 v69, v3, v65, 2
	s_wait_dscnt 0x1
	ds_bpermute_b32 v14, v69, v2
	s_wait_dscnt 0x1
	ds_bpermute_b32 v19, v69, v5
	v_cmpx_le_u32_e64 v70, v7
	s_cbranch_execz .LBB21_390
; %bb.389:
	v_mov_b32_e32 v18, 0
	s_delay_alu instid0(VALU_DEP_1) | instskip(SKIP_1) | instid1(VALU_DEP_1)
	v_mov_b32_e32 v15, v18
	s_wait_dscnt 0x1
	v_add_nc_u64_e32 v[2:3], v[4:5], v[14:15]
	s_wait_dscnt 0x0
	s_delay_alu instid0(VALU_DEP_1)
	v_add_nc_u64_e32 v[4:5], v[18:19], v[2:3]
.LBB21_390:
	s_or_b32 exec_lo, exec_lo, s26
	v_cmp_gt_u32_e32 vcc_lo, 28, v65
	v_add_nc_u32_e32 v72, 4, v65
	s_mov_b32 s26, exec_lo
	v_cndmask_b32_e64 v3, 0, 4, vcc_lo
	s_delay_alu instid0(VALU_DEP_1)
	v_add_lshl_u32 v71, v3, v65, 2
	s_wait_dscnt 0x1
	ds_bpermute_b32 v14, v71, v2
	s_wait_dscnt 0x1
	ds_bpermute_b32 v19, v71, v5
	v_cmpx_le_u32_e64 v72, v7
	;; [unrolled: 23-line block ×3, first 2 shown]
	s_cbranch_execz .LBB21_394
; %bb.393:
	v_mov_b32_e32 v18, 0
	s_delay_alu instid0(VALU_DEP_1) | instskip(SKIP_1) | instid1(VALU_DEP_1)
	v_mov_b32_e32 v15, v18
	s_wait_dscnt 0x1
	v_add_nc_u64_e32 v[2:3], v[4:5], v[14:15]
	s_wait_dscnt 0x0
	s_delay_alu instid0(VALU_DEP_1)
	v_add_nc_u64_e32 v[4:5], v[18:19], v[2:3]
.LBB21_394:
	s_or_b32 exec_lo, exec_lo, s26
	v_lshl_or_b32 v75, v65, 2, 64
	v_add_nc_u32_e32 v76, 16, v65
	s_mov_b32 s26, exec_lo
	ds_bpermute_b32 v2, v75, v2
	ds_bpermute_b32 v15, v75, v5
	v_cmpx_le_u32_e64 v76, v7
	s_cbranch_execz .LBB21_396
; %bb.395:
	s_wait_dscnt 0x3
	v_mov_b32_e32 v14, 0
	s_delay_alu instid0(VALU_DEP_1) | instskip(SKIP_1) | instid1(VALU_DEP_1)
	v_mov_b32_e32 v3, v14
	s_wait_dscnt 0x1
	v_add_nc_u64_e32 v[2:3], v[4:5], v[2:3]
	s_wait_dscnt 0x0
	s_delay_alu instid0(VALU_DEP_1)
	v_add_nc_u64_e32 v[4:5], v[2:3], v[14:15]
.LBB21_396:
	s_or_b32 exec_lo, exec_lo, s26
	v_mov_b32_e32 v13, 0
	s_branch .LBB21_399
.LBB21_397:                             ;   in Loop: Header=BB21_399 Depth=1
	s_or_b32 exec_lo, exec_lo, s26
	s_delay_alu instid0(VALU_DEP_1)
	v_add_nc_u64_e32 v[4:5], v[4:5], v[2:3]
	v_subrev_nc_u32_e32 v12, 32, v12
	s_mov_b32 s26, 0
.LBB21_398:                             ;   in Loop: Header=BB21_399 Depth=1
	s_delay_alu instid0(SALU_CYCLE_1)
	s_and_b32 vcc_lo, exec_lo, s26
	s_cbranch_vccnz .LBB21_415
.LBB21_399:                             ; =>This Loop Header: Depth=1
                                        ;     Child Loop BB21_402 Depth 2
	s_wait_dscnt 0x1
	v_and_b32_e32 v2, 0xff, v6
	s_mov_b32 s26, -1
	s_delay_alu instid0(VALU_DEP_1)
	v_cmp_ne_u16_e32 vcc_lo, 2, v2
	v_mov_b64_e32 v[2:3], v[4:5]
                                        ; implicit-def: $vgpr4_vgpr5
	s_cmp_lg_u32 vcc_lo, exec_lo
	s_cbranch_scc1 .LBB21_398
; %bb.400:                              ;   in Loop: Header=BB21_399 Depth=1
	s_wait_dscnt 0x0
	v_lshl_add_u64 v[14:15], v[12:13], 4, s[28:29]
	;;#ASMSTART
	global_load_b128 v[4:7], v[14:15] off scope:SCOPE_DEV	
s_wait_loadcnt 0x0
	;;#ASMEND
	v_and_b32_e32 v7, 0xff, v6
	s_mov_b32 s26, exec_lo
	s_delay_alu instid0(VALU_DEP_1)
	v_cmpx_eq_u16_e32 0, v7
	s_cbranch_execz .LBB21_404
; %bb.401:                              ;   in Loop: Header=BB21_399 Depth=1
	s_mov_b32 s27, 0
.LBB21_402:                             ;   Parent Loop BB21_399 Depth=1
                                        ; =>  This Inner Loop Header: Depth=2
	;;#ASMSTART
	global_load_b128 v[4:7], v[14:15] off scope:SCOPE_DEV	
s_wait_loadcnt 0x0
	;;#ASMEND
	v_and_b32_e32 v7, 0xff, v6
	s_delay_alu instid0(VALU_DEP_1) | instskip(SKIP_1) | instid1(SALU_CYCLE_1)
	v_cmp_ne_u16_e32 vcc_lo, 0, v7
	s_or_b32 s27, vcc_lo, s27
	s_and_not1_b32 exec_lo, exec_lo, s27
	s_cbranch_execnz .LBB21_402
; %bb.403:                              ;   in Loop: Header=BB21_399 Depth=1
	s_or_b32 exec_lo, exec_lo, s27
.LBB21_404:                             ;   in Loop: Header=BB21_399 Depth=1
	s_delay_alu instid0(SALU_CYCLE_1)
	s_or_b32 exec_lo, exec_lo, s26
	v_and_b32_e32 v7, 0xff, v6
	ds_bpermute_b32 v18, v67, v4
	ds_bpermute_b32 v21, v67, v5
	v_mov_b32_e32 v14, v4
	s_mov_b32 s26, exec_lo
	v_cmp_eq_u16_e32 vcc_lo, 2, v7
	v_and_or_b32 v7, vcc_lo, v68, 0x80000000
	s_delay_alu instid0(VALU_DEP_1) | instskip(NEXT) | instid1(VALU_DEP_1)
	v_ctz_i32_b32_e32 v7, v7
	v_cmpx_lt_u32_e64 v65, v7
	s_cbranch_execz .LBB21_406
; %bb.405:                              ;   in Loop: Header=BB21_399 Depth=1
	v_dual_mov_b32 v19, v13 :: v_dual_mov_b32 v20, v13
	s_wait_dscnt 0x1
	s_delay_alu instid0(VALU_DEP_1) | instskip(SKIP_1) | instid1(VALU_DEP_1)
	v_add_nc_u64_e32 v[14:15], v[4:5], v[18:19]
	s_wait_dscnt 0x0
	v_add_nc_u64_e32 v[4:5], v[20:21], v[14:15]
.LBB21_406:                             ;   in Loop: Header=BB21_399 Depth=1
	s_or_b32 exec_lo, exec_lo, s26
	ds_bpermute_b32 v20, v69, v14
	ds_bpermute_b32 v19, v69, v5
	s_mov_b32 s26, exec_lo
	v_cmpx_le_u32_e64 v70, v7
	s_cbranch_execz .LBB21_408
; %bb.407:                              ;   in Loop: Header=BB21_399 Depth=1
	s_wait_dscnt 0x2
	v_dual_mov_b32 v21, v13 :: v_dual_mov_b32 v18, v13
	s_wait_dscnt 0x1
	s_delay_alu instid0(VALU_DEP_1) | instskip(SKIP_1) | instid1(VALU_DEP_1)
	v_add_nc_u64_e32 v[14:15], v[4:5], v[20:21]
	s_wait_dscnt 0x0
	v_add_nc_u64_e32 v[4:5], v[18:19], v[14:15]
.LBB21_408:                             ;   in Loop: Header=BB21_399 Depth=1
	s_or_b32 exec_lo, exec_lo, s26
	s_wait_dscnt 0x1
	ds_bpermute_b32 v20, v71, v14
	s_wait_dscnt 0x1
	ds_bpermute_b32 v19, v71, v5
	s_mov_b32 s26, exec_lo
	v_cmpx_le_u32_e64 v72, v7
	s_cbranch_execz .LBB21_410
; %bb.409:                              ;   in Loop: Header=BB21_399 Depth=1
	v_dual_mov_b32 v21, v13 :: v_dual_mov_b32 v18, v13
	s_wait_dscnt 0x1
	s_delay_alu instid0(VALU_DEP_1) | instskip(SKIP_1) | instid1(VALU_DEP_1)
	v_add_nc_u64_e32 v[14:15], v[4:5], v[20:21]
	s_wait_dscnt 0x0
	v_add_nc_u64_e32 v[4:5], v[18:19], v[14:15]
.LBB21_410:                             ;   in Loop: Header=BB21_399 Depth=1
	s_or_b32 exec_lo, exec_lo, s26
	s_wait_dscnt 0x1
	ds_bpermute_b32 v20, v73, v14
	s_wait_dscnt 0x1
	ds_bpermute_b32 v19, v73, v5
	s_mov_b32 s26, exec_lo
	v_cmpx_le_u32_e64 v74, v7
	s_cbranch_execz .LBB21_412
; %bb.411:                              ;   in Loop: Header=BB21_399 Depth=1
	v_dual_mov_b32 v21, v13 :: v_dual_mov_b32 v18, v13
	s_wait_dscnt 0x1
	s_delay_alu instid0(VALU_DEP_1) | instskip(SKIP_1) | instid1(VALU_DEP_1)
	v_add_nc_u64_e32 v[14:15], v[4:5], v[20:21]
	s_wait_dscnt 0x0
	v_add_nc_u64_e32 v[4:5], v[18:19], v[14:15]
.LBB21_412:                             ;   in Loop: Header=BB21_399 Depth=1
	s_or_b32 exec_lo, exec_lo, s26
	ds_bpermute_b32 v18, v75, v14
	ds_bpermute_b32 v15, v75, v5
	s_mov_b32 s26, exec_lo
	v_cmpx_le_u32_e64 v76, v7
	s_cbranch_execz .LBB21_397
; %bb.413:                              ;   in Loop: Header=BB21_399 Depth=1
	s_wait_dscnt 0x2
	v_dual_mov_b32 v19, v13 :: v_dual_mov_b32 v14, v13
	s_wait_dscnt 0x1
	s_delay_alu instid0(VALU_DEP_1) | instskip(SKIP_1) | instid1(VALU_DEP_1)
	v_add_nc_u64_e32 v[4:5], v[4:5], v[18:19]
	s_wait_dscnt 0x0
	v_add_nc_u64_e32 v[4:5], v[4:5], v[14:15]
	s_branch .LBB21_397
.LBB21_414:
                                        ; implicit-def: $vgpr2_vgpr3
                                        ; implicit-def: $vgpr4_vgpr5
	s_cbranch_execnz .LBB21_420
	s_branch .LBB21_445
.LBB21_415:
	s_and_saveexec_b32 s26, s22
	s_cbranch_execz .LBB21_417
; %bb.416:
	s_add_co_i32 s30, s30, 32
	s_mov_b32 s31, 0
	v_dual_mov_b32 v6, 2 :: v_dual_mov_b32 v7, 0
	s_lshl_b64 s[30:31], s[30:31], 4
	v_add_nc_u64_e32 v[4:5], v[2:3], v[0:1]
	s_add_nc_u64 s[30:31], s[28:29], s[30:31]
	s_delay_alu instid0(SALU_CYCLE_1)
	v_mov_b64_e32 v[12:13], s[30:31]
	;;#ASMSTART
	global_store_b128 v[12:13], v[4:7] off scope:SCOPE_DEV	
s_wait_storecnt 0x0
	;;#ASMEND
	ds_store_b128 v7, v[0:3] offset:64
.LBB21_417:
	s_or_b32 exec_lo, exec_lo, s26
	s_delay_alu instid0(SALU_CYCLE_1)
	s_and_b32 exec_lo, exec_lo, s1
; %bb.418:
	v_mov_b32_e32 v0, 0
	ds_store_b64 v0, v[2:3] offset:56
.LBB21_419:
	s_or_b32 exec_lo, exec_lo, s23
	v_mov_b32_e32 v0, 0
	s_wait_dscnt 0x0
	s_barrier_signal -1
	s_barrier_wait -1
	ds_load_b64 v[4:5], v0 offset:56
	s_wait_dscnt 0x0
	s_barrier_signal -1
	s_barrier_wait -1
	ds_load_b128 v[0:3], v0 offset:64
	s_wait_dscnt 0x0
	v_dual_cndmask_b32 v1, 0, v11, s22 :: v_dual_cndmask_b32 v6, v66, v10, s22
	s_delay_alu instid0(VALU_DEP_1) | instskip(NEXT) | instid1(VALU_DEP_2)
	v_cndmask_b32_e64 v7, v1, 0, s1
	v_cndmask_b32_e64 v6, v6, 0, s1
	s_delay_alu instid0(VALU_DEP_1)
	v_add_nc_u64_e32 v[4:5], v[4:5], v[6:7]
	s_branch .LBB21_445
.LBB21_420:
	v_dual_mov_b32 v3, 0 :: v_dual_bitop2_b32 v6, 15, v65 bitop3:0x40
	v_mov_b64_e32 v[0:1], v[8:9]
	v_mov_b32_dpp v2, v8 row_shr:1 row_mask:0xf bank_mask:0xf
	s_mov_b32 s22, exec_lo
	s_delay_alu instid0(VALU_DEP_3)
	v_mov_b32_dpp v5, v3 row_shr:1 row_mask:0xf bank_mask:0xf
	v_cmpx_ne_u32_e32 0, v6
; %bb.421:
	v_mov_b32_e32 v4, 0
	s_delay_alu instid0(VALU_DEP_1) | instskip(NEXT) | instid1(VALU_DEP_1)
	v_mov_b32_e32 v3, v4
	v_add_nc_u64_e32 v[8:9], v[2:3], v[8:9]
	s_delay_alu instid0(VALU_DEP_1) | instskip(NEXT) | instid1(VALU_DEP_1)
	v_add_nc_u64_e32 v[2:3], v[4:5], v[8:9]
	v_mov_b64_e32 v[0:1], v[2:3]
; %bb.422:
	s_or_b32 exec_lo, exec_lo, s22
	v_mov_b32_dpp v2, v8 row_shr:2 row_mask:0xf bank_mask:0xf
	v_mov_b32_dpp v5, v3 row_shr:2 row_mask:0xf bank_mask:0xf
	s_mov_b32 s22, exec_lo
	v_cmpx_lt_u32_e32 1, v6
; %bb.423:
	v_mov_b32_e32 v4, 0
	s_delay_alu instid0(VALU_DEP_1) | instskip(NEXT) | instid1(VALU_DEP_1)
	v_mov_b32_e32 v3, v4
	v_add_nc_u64_e32 v[8:9], v[0:1], v[2:3]
	s_delay_alu instid0(VALU_DEP_1) | instskip(NEXT) | instid1(VALU_DEP_1)
	v_add_nc_u64_e32 v[2:3], v[4:5], v[8:9]
	v_mov_b64_e32 v[0:1], v[2:3]
; %bb.424:
	s_or_b32 exec_lo, exec_lo, s22
	v_mov_b32_dpp v2, v8 row_shr:4 row_mask:0xf bank_mask:0xf
	v_mov_b32_dpp v5, v3 row_shr:4 row_mask:0xf bank_mask:0xf
	s_mov_b32 s22, exec_lo
	v_cmpx_lt_u32_e32 3, v6
; %bb.425:
	v_mov_b32_e32 v4, 0
	s_delay_alu instid0(VALU_DEP_1) | instskip(NEXT) | instid1(VALU_DEP_1)
	v_mov_b32_e32 v3, v4
	v_add_nc_u64_e32 v[8:9], v[0:1], v[2:3]
	s_delay_alu instid0(VALU_DEP_1) | instskip(NEXT) | instid1(VALU_DEP_1)
	v_add_nc_u64_e32 v[2:3], v[4:5], v[8:9]
	v_mov_b64_e32 v[0:1], v[2:3]
; %bb.426:
	s_or_b32 exec_lo, exec_lo, s22
	v_mov_b32_dpp v2, v8 row_shr:8 row_mask:0xf bank_mask:0xf
	v_mov_b32_dpp v5, v3 row_shr:8 row_mask:0xf bank_mask:0xf
	s_mov_b32 s22, exec_lo
	v_cmpx_lt_u32_e32 7, v6
; %bb.427:
	v_mov_b32_e32 v4, 0
	s_delay_alu instid0(VALU_DEP_1) | instskip(NEXT) | instid1(VALU_DEP_1)
	v_mov_b32_e32 v3, v4
	v_add_nc_u64_e32 v[8:9], v[0:1], v[2:3]
	s_delay_alu instid0(VALU_DEP_1) | instskip(NEXT) | instid1(VALU_DEP_1)
	v_add_nc_u64_e32 v[0:1], v[4:5], v[8:9]
	v_mov_b32_e32 v3, v1
; %bb.428:
	s_or_b32 exec_lo, exec_lo, s22
	ds_swizzle_b32 v2, v8 offset:swizzle(BROADCAST,32,15)
	ds_swizzle_b32 v5, v3 offset:swizzle(BROADCAST,32,15)
	v_and_b32_e32 v3, 16, v65
	s_mov_b32 s22, exec_lo
	s_delay_alu instid0(VALU_DEP_1)
	v_cmpx_ne_u32_e32 0, v3
	s_cbranch_execz .LBB21_430
; %bb.429:
	v_mov_b32_e32 v4, 0
	s_delay_alu instid0(VALU_DEP_1) | instskip(SKIP_1) | instid1(VALU_DEP_1)
	v_mov_b32_e32 v3, v4
	s_wait_dscnt 0x1
	v_add_nc_u64_e32 v[8:9], v[0:1], v[2:3]
	s_wait_dscnt 0x0
	s_delay_alu instid0(VALU_DEP_1)
	v_add_nc_u64_e32 v[0:1], v[4:5], v[8:9]
.LBB21_430:
	s_or_b32 exec_lo, exec_lo, s22
	s_wait_dscnt 0x1
	v_and_b32_e32 v2, 0x3e0, v16
	s_mov_b32 s22, exec_lo
	v_lshrrev_b32_e32 v9, 5, v16
	s_delay_alu instid0(VALU_DEP_2) | instskip(NEXT) | instid1(VALU_DEP_1)
	v_min_u32_e32 v2, 0xe0, v2
	v_or_b32_e32 v2, 31, v2
	s_delay_alu instid0(VALU_DEP_1)
	v_cmpx_eq_u32_e64 v16, v2
; %bb.431:
	s_delay_alu instid0(VALU_DEP_4)
	v_lshlrev_b32_e32 v2, 3, v9
	ds_store_b64 v2, v[0:1]
; %bb.432:
	s_or_b32 exec_lo, exec_lo, s22
	s_delay_alu instid0(SALU_CYCLE_1)
	s_mov_b32 s22, exec_lo
	s_wait_dscnt 0x0
	s_barrier_signal -1
	s_barrier_wait -1
	v_cmpx_gt_u32_e32 8, v16
	s_cbranch_execz .LBB21_440
; %bb.433:
	v_dual_lshlrev_b32 v10, 3, v16 :: v_dual_bitop2_b32 v11, 7, v65 bitop3:0x40
	s_mov_b32 s23, exec_lo
	ds_load_b64 v[0:1], v10
	s_wait_dscnt 0x0
	v_mov_b32_dpp v4, v0 row_shr:1 row_mask:0xf bank_mask:0xf
	v_mov_b32_dpp v7, v1 row_shr:1 row_mask:0xf bank_mask:0xf
	v_mov_b32_e32 v2, v0
	v_cmpx_ne_u32_e32 0, v11
; %bb.434:
	v_mov_b32_e32 v6, 0
	s_delay_alu instid0(VALU_DEP_1) | instskip(NEXT) | instid1(VALU_DEP_1)
	v_mov_b32_e32 v5, v6
	v_add_nc_u64_e32 v[2:3], v[0:1], v[4:5]
	s_delay_alu instid0(VALU_DEP_1)
	v_add_nc_u64_e32 v[0:1], v[6:7], v[2:3]
; %bb.435:
	s_or_b32 exec_lo, exec_lo, s23
	v_mov_b32_dpp v4, v2 row_shr:2 row_mask:0xf bank_mask:0xf
	s_delay_alu instid0(VALU_DEP_2)
	v_mov_b32_dpp v7, v1 row_shr:2 row_mask:0xf bank_mask:0xf
	s_mov_b32 s23, exec_lo
	v_cmpx_lt_u32_e32 1, v11
; %bb.436:
	v_mov_b32_e32 v6, 0
	s_delay_alu instid0(VALU_DEP_1) | instskip(NEXT) | instid1(VALU_DEP_1)
	v_mov_b32_e32 v5, v6
	v_add_nc_u64_e32 v[2:3], v[0:1], v[4:5]
	s_delay_alu instid0(VALU_DEP_1)
	v_add_nc_u64_e32 v[0:1], v[6:7], v[2:3]
; %bb.437:
	s_or_b32 exec_lo, exec_lo, s23
	v_mov_b32_dpp v2, v2 row_shr:4 row_mask:0xf bank_mask:0xf
	s_delay_alu instid0(VALU_DEP_2)
	v_mov_b32_dpp v5, v1 row_shr:4 row_mask:0xf bank_mask:0xf
	s_mov_b32 s23, exec_lo
	v_cmpx_lt_u32_e32 3, v11
; %bb.438:
	v_mov_b32_e32 v4, 0
	s_delay_alu instid0(VALU_DEP_1) | instskip(NEXT) | instid1(VALU_DEP_1)
	v_mov_b32_e32 v3, v4
	v_add_nc_u64_e32 v[0:1], v[0:1], v[2:3]
	s_delay_alu instid0(VALU_DEP_1)
	v_add_nc_u64_e32 v[0:1], v[0:1], v[4:5]
; %bb.439:
	s_or_b32 exec_lo, exec_lo, s23
	ds_store_b64 v10, v[0:1]
.LBB21_440:
	s_or_b32 exec_lo, exec_lo, s22
	v_mov_b64_e32 v[2:3], 0
	s_mov_b32 s22, exec_lo
	s_wait_dscnt 0x0
	s_barrier_signal -1
	s_barrier_wait -1
	v_cmpx_lt_u32_e32 31, v16
; %bb.441:
	v_lshl_add_u32 v0, v9, 3, -8
	ds_load_b64 v[2:3], v0
; %bb.442:
	s_or_b32 exec_lo, exec_lo, s22
	v_sub_co_u32 v0, vcc_lo, v65, 1
	s_wait_dscnt 0x0
	v_mov_b32_e32 v3, 0
	s_delay_alu instid0(VALU_DEP_2) | instskip(NEXT) | instid1(VALU_DEP_1)
	v_cmp_gt_i32_e64 s22, 0, v0
	v_cndmask_b32_e64 v0, v0, v65, s22
	s_delay_alu instid0(VALU_DEP_1)
	v_dual_add_nc_u32 v1, v8, v2 :: v_dual_lshlrev_b32 v0, 2, v0
	ds_bpermute_b32 v4, v0, v1
	ds_load_b64 v[0:1], v3 offset:56
	s_wait_dscnt 0x1
	v_cndmask_b32_e32 v4, v4, v2, vcc_lo
	s_and_saveexec_b32 s22, s1
	s_cbranch_execz .LBB21_444
; %bb.443:
	s_add_nc_u64 s[26:27], s[28:29], 0x200
	v_mov_b32_e32 v2, 2
	v_mov_b64_e32 v[6:7], s[26:27]
	s_wait_dscnt 0x0
	;;#ASMSTART
	global_store_b128 v[6:7], v[0:3] off scope:SCOPE_DEV	
s_wait_storecnt 0x0
	;;#ASMEND
.LBB21_444:
	s_or_b32 exec_lo, exec_lo, s22
	v_mov_b64_e32 v[2:3], 0
.LBB21_445:
	s_wait_dscnt 0x0
	s_delay_alu instid0(VALU_DEP_1)
	v_sub_nc_u32_e32 v1, v4, v2
	s_barrier_signal -1
	s_barrier_wait -1
	s_and_saveexec_b32 s1, s21
	s_cbranch_execnz .LBB21_483
; %bb.446:
	s_or_b32 exec_lo, exec_lo, s1
	s_and_saveexec_b32 s0, s20
	s_cbranch_execnz .LBB21_484
.LBB21_447:
	s_or_b32 exec_lo, exec_lo, s0
	s_and_saveexec_b32 s0, s19
	s_cbranch_execnz .LBB21_485
.LBB21_448:
	s_or_b32 exec_lo, exec_lo, s0
	s_and_saveexec_b32 s0, s18
	s_cbranch_execnz .LBB21_486
.LBB21_449:
	s_or_b32 exec_lo, exec_lo, s0
	s_and_saveexec_b32 s0, s17
	s_cbranch_execnz .LBB21_487
.LBB21_450:
	s_or_b32 exec_lo, exec_lo, s0
	s_and_saveexec_b32 s0, s16
.LBB21_451:
	v_dual_cndmask_b32 v4, v35, v36, s6 :: v_dual_lshlrev_b32 v5, 2, v1
	v_add_nc_u32_e32 v1, 1, v1
	ds_store_b32 v5, v4 offset:1024
.LBB21_452:
	s_or_b32 exec_lo, exec_lo, s0
	v_and_b32_e32 v4, 64, v64
	s_mov_b32 s0, exec_lo
	s_delay_alu instid0(VALU_DEP_1)
	v_cmpx_ne_u32_e32 0, v4
; %bb.453:
	v_dual_cndmask_b32 v4, v37, v38, s7 :: v_dual_lshlrev_b32 v5, 2, v1
	v_add_nc_u32_e32 v1, 1, v1
	ds_store_b32 v5, v4 offset:1024
; %bb.454:
	s_or_b32 exec_lo, exec_lo, s0
	v_and_b32_e32 v4, 0x80, v63
	s_mov_b32 s0, exec_lo
	s_delay_alu instid0(VALU_DEP_1)
	v_cmpx_ne_u32_e32 0, v4
; %bb.455:
	v_dual_cndmask_b32 v4, v39, v40, s8 :: v_dual_lshlrev_b32 v5, 2, v1
	v_add_nc_u32_e32 v1, 1, v1
	ds_store_b32 v5, v4 offset:1024
; %bb.456:
	;; [unrolled: 10-line block ×9, first 2 shown]
	s_or_b32 exec_lo, exec_lo, s0
	v_and_b32_e32 v4, 0x8000, v59
	s_mov_b32 s2, exec_lo
	s_delay_alu instid0(VALU_DEP_1)
	v_cmpx_ne_u32_e32 0, v4
	s_cbranch_execz .LBB21_472
; %bb.471:
	v_cmp_lt_i32_e32 vcc_lo, v57, v55
	v_cmp_lt_i32_e64 s0, v58, v24
	v_cmp_ge_i32_e64 s1, v56, v23
	v_lshlrev_b32_e32 v1, 2, v1
	s_and_b32 s0, s0, vcc_lo
	s_delay_alu instid0(SALU_CYCLE_1)
	s_or_b32 vcc_lo, s1, s0
	v_cndmask_b32_e32 v4, v55, v57, vcc_lo
	ds_store_b32 v1, v4 offset:1024
.LBB21_472:
	s_or_b32 exec_lo, exec_lo, s2
	s_wait_dscnt 0x0
	s_barrier_signal -1
	s_barrier_wait -1
	s_mov_b32 s0, exec_lo
	v_cmpx_lt_i32_e64 v16, v0
	s_cbranch_execz .LBB21_482
; %bb.473:
	v_lshlrev_b64_e32 v[2:3], 2, v[2:3]
	v_xad_u32 v1, v16, -1, v0
	s_mov_b32 s1, -1
	s_mov_b32 s0, exec_lo
	s_delay_alu instid0(VALU_DEP_1)
	v_cmpx_lt_u32_e32 0xff, v1
	s_cbranch_execz .LBB21_479
; %bb.474:
	v_dual_lshrrev_b32 v1, 8, v1 :: v_dual_mov_b32 v17, v22
	v_add_nc_u64_e32 v[4:5], s[24:25], v[2:3]
	v_lshl_add_u32 v11, v16, 2, 0x400
	s_mov_b32 s1, 0
	s_delay_alu instid0(VALU_DEP_3) | instskip(SKIP_1) | instid1(VALU_DEP_2)
	v_dual_mov_b32 v7, 0 :: v_dual_add_nc_u32 v10, 1, v1
	v_mov_b64_e32 v[8:9], v[16:17]
	v_and_b32_e32 v1, 0x1fffffe, v10
	s_delay_alu instid0(VALU_DEP_1)
	v_mov_b32_e32 v12, v1
.LBB21_475:                             ; =>This Inner Loop Header: Depth=1
	ds_load_2addr_stride64_b32 v[14:15], v11 offset1:4
	v_dual_mov_b32 v6, v8 :: v_dual_add_nc_u32 v12, -2, v12
	v_add_nc_u32_e32 v8, 0x200, v8
	v_add_nc_u32_e32 v11, 0x800, v11
	s_delay_alu instid0(VALU_DEP_3) | instskip(SKIP_3) | instid1(VALU_DEP_3)
	v_lshl_add_u64 v[18:19], v[6:7], 2, v[4:5]
	v_mov_b32_e32 v6, v9
	v_cmp_eq_u32_e32 vcc_lo, 0, v12
	v_add_nc_u32_e32 v9, 0x200, v9
	v_lshl_add_u64 v[20:21], v[6:7], 2, v[4:5]
	s_or_b32 s1, vcc_lo, s1
	s_wait_dscnt 0x0
	s_clause 0x1
	global_store_b32 v[18:19], v14, off
	global_store_b32 v[20:21], v15, off
	s_wait_xcnt 0x0
	s_and_not1_b32 exec_lo, exec_lo, s1
	s_cbranch_execnz .LBB21_475
; %bb.476:
	s_or_b32 exec_lo, exec_lo, s1
	s_mov_b32 s1, 0
	s_mov_b32 s2, exec_lo
	v_cmpx_ne_u32_e64 v10, v1
; %bb.477:
	v_lshl_add_u32 v16, v1, 8, v16
	v_mov_b32_e32 v17, 0
	s_mov_b32 s1, exec_lo
; %bb.478:
	s_or_b32 exec_lo, exec_lo, s2
	s_delay_alu instid0(SALU_CYCLE_1)
	s_or_not1_b32 s1, s1, exec_lo
.LBB21_479:
	s_or_b32 exec_lo, exec_lo, s0
	s_delay_alu instid0(SALU_CYCLE_1)
	s_and_b32 exec_lo, exec_lo, s1
	s_cbranch_execz .LBB21_482
; %bb.480:
	v_add_nc_u64_e32 v[2:3], s[24:25], v[2:3]
	v_lshl_add_u32 v1, v16, 2, 0x400
	s_mov_b32 s0, 0
	s_delay_alu instid0(VALU_DEP_2)
	v_lshl_add_u64 v[2:3], v[16:17], 2, v[2:3]
.LBB21_481:                             ; =>This Inner Loop Header: Depth=1
	ds_load_b32 v4, v1
	v_add_nc_u32_e32 v16, 0x100, v16
	v_add_nc_u32_e32 v1, 0x400, v1
	s_delay_alu instid0(VALU_DEP_2)
	v_cmp_ge_i32_e32 vcc_lo, v16, v0
	s_or_b32 s0, vcc_lo, s0
	s_wait_dscnt 0x0
	global_store_b32 v[2:3], v4, off
	s_wait_xcnt 0x0
	v_add_nc_u64_e32 v[2:3], 0x400, v[2:3]
	s_and_not1_b32 exec_lo, exec_lo, s0
	s_cbranch_execnz .LBB21_481
.LBB21_482:
	s_sendmsg sendmsg(MSG_DEALLOC_VGPRS)
	s_endpgm
.LBB21_483:
	v_dual_add_nc_u32 v4, 1, v1 :: v_dual_cndmask_b32 v5, v25, v26, s0
	s_delay_alu instid0(VALU_DEP_1)
	v_dual_mov_b32 v1, v4 :: v_dual_lshlrev_b32 v6, 2, v1
	ds_store_b32 v6, v5 offset:1024
	s_or_b32 exec_lo, exec_lo, s1
	s_and_saveexec_b32 s0, s20
	s_cbranch_execz .LBB21_447
.LBB21_484:
	v_dual_cndmask_b32 v4, v27, v28, s2 :: v_dual_lshlrev_b32 v5, 2, v1
	v_add_nc_u32_e32 v1, 1, v1
	ds_store_b32 v5, v4 offset:1024
	s_or_b32 exec_lo, exec_lo, s0
	s_and_saveexec_b32 s0, s19
	s_cbranch_execz .LBB21_448
.LBB21_485:
	v_dual_cndmask_b32 v4, v29, v30, s3 :: v_dual_lshlrev_b32 v5, 2, v1
	v_add_nc_u32_e32 v1, 1, v1
	ds_store_b32 v5, v4 offset:1024
	s_or_b32 exec_lo, exec_lo, s0
	s_and_saveexec_b32 s0, s18
	s_cbranch_execz .LBB21_449
.LBB21_486:
	v_dual_cndmask_b32 v4, v31, v32, s4 :: v_dual_lshlrev_b32 v5, 2, v1
	v_add_nc_u32_e32 v1, 1, v1
	ds_store_b32 v5, v4 offset:1024
	s_or_b32 exec_lo, exec_lo, s0
	s_and_saveexec_b32 s0, s17
	s_cbranch_execz .LBB21_450
.LBB21_487:
	v_dual_cndmask_b32 v4, v33, v34, s5 :: v_dual_lshlrev_b32 v5, 2, v1
	v_add_nc_u32_e32 v1, 1, v1
	ds_store_b32 v5, v4 offset:1024
	s_or_b32 exec_lo, exec_lo, s0
	s_and_saveexec_b32 s0, s16
	s_cbranch_execnz .LBB21_451
	s_branch .LBB21_452
	.section	.rodata,"a",@progbits
	.p2align	6, 0x0
	.amdhsa_kernel _ZN6thrust23THRUST_200600_302600_NS11hip_rocprim16__set_operations22lookback_set_op_kernelIN7rocprim17ROCPRIM_400000_NS13kernel_configILj256ELj16ELj4294967295EEELb0ENS0_6detail15normal_iteratorINS0_10device_ptrIKiEEEESD_PiSE_lNS9_INSA_IiEEEESE_NS0_4lessIiEENS2_16serial_set_unionENS5_6detail19lookback_scan_stateIlLb0ELb1EEEEEvT1_T2_T3_T4_T6_T7_T8_T9_PNS0_4pairIT5_SW_EEPSW_T10_NSK_16ordered_block_idIjEE
		.amdhsa_group_segment_fixed_size 36868
		.amdhsa_private_segment_fixed_size 0
		.amdhsa_kernarg_size 344
		.amdhsa_user_sgpr_count 2
		.amdhsa_user_sgpr_dispatch_ptr 0
		.amdhsa_user_sgpr_queue_ptr 0
		.amdhsa_user_sgpr_kernarg_segment_ptr 1
		.amdhsa_user_sgpr_dispatch_id 0
		.amdhsa_user_sgpr_kernarg_preload_length 0
		.amdhsa_user_sgpr_kernarg_preload_offset 0
		.amdhsa_user_sgpr_private_segment_size 0
		.amdhsa_wavefront_size32 1
		.amdhsa_uses_dynamic_stack 0
		.amdhsa_enable_private_segment 0
		.amdhsa_system_sgpr_workgroup_id_x 1
		.amdhsa_system_sgpr_workgroup_id_y 0
		.amdhsa_system_sgpr_workgroup_id_z 0
		.amdhsa_system_sgpr_workgroup_info 0
		.amdhsa_system_vgpr_workitem_id 2
		.amdhsa_next_free_vgpr 81
		.amdhsa_next_free_sgpr 36
		.amdhsa_named_barrier_count 0
		.amdhsa_reserve_vcc 1
		.amdhsa_float_round_mode_32 0
		.amdhsa_float_round_mode_16_64 0
		.amdhsa_float_denorm_mode_32 3
		.amdhsa_float_denorm_mode_16_64 3
		.amdhsa_fp16_overflow 0
		.amdhsa_memory_ordered 1
		.amdhsa_forward_progress 1
		.amdhsa_inst_pref_size 169
		.amdhsa_round_robin_scheduling 0
		.amdhsa_exception_fp_ieee_invalid_op 0
		.amdhsa_exception_fp_denorm_src 0
		.amdhsa_exception_fp_ieee_div_zero 0
		.amdhsa_exception_fp_ieee_overflow 0
		.amdhsa_exception_fp_ieee_underflow 0
		.amdhsa_exception_fp_ieee_inexact 0
		.amdhsa_exception_int_div_zero 0
	.end_amdhsa_kernel
	.section	.text._ZN6thrust23THRUST_200600_302600_NS11hip_rocprim16__set_operations22lookback_set_op_kernelIN7rocprim17ROCPRIM_400000_NS13kernel_configILj256ELj16ELj4294967295EEELb0ENS0_6detail15normal_iteratorINS0_10device_ptrIKiEEEESD_PiSE_lNS9_INSA_IiEEEESE_NS0_4lessIiEENS2_16serial_set_unionENS5_6detail19lookback_scan_stateIlLb0ELb1EEEEEvT1_T2_T3_T4_T6_T7_T8_T9_PNS0_4pairIT5_SW_EEPSW_T10_NSK_16ordered_block_idIjEE,"axG",@progbits,_ZN6thrust23THRUST_200600_302600_NS11hip_rocprim16__set_operations22lookback_set_op_kernelIN7rocprim17ROCPRIM_400000_NS13kernel_configILj256ELj16ELj4294967295EEELb0ENS0_6detail15normal_iteratorINS0_10device_ptrIKiEEEESD_PiSE_lNS9_INSA_IiEEEESE_NS0_4lessIiEENS2_16serial_set_unionENS5_6detail19lookback_scan_stateIlLb0ELb1EEEEEvT1_T2_T3_T4_T6_T7_T8_T9_PNS0_4pairIT5_SW_EEPSW_T10_NSK_16ordered_block_idIjEE,comdat
.Lfunc_end21:
	.size	_ZN6thrust23THRUST_200600_302600_NS11hip_rocprim16__set_operations22lookback_set_op_kernelIN7rocprim17ROCPRIM_400000_NS13kernel_configILj256ELj16ELj4294967295EEELb0ENS0_6detail15normal_iteratorINS0_10device_ptrIKiEEEESD_PiSE_lNS9_INSA_IiEEEESE_NS0_4lessIiEENS2_16serial_set_unionENS5_6detail19lookback_scan_stateIlLb0ELb1EEEEEvT1_T2_T3_T4_T6_T7_T8_T9_PNS0_4pairIT5_SW_EEPSW_T10_NSK_16ordered_block_idIjEE, .Lfunc_end21-_ZN6thrust23THRUST_200600_302600_NS11hip_rocprim16__set_operations22lookback_set_op_kernelIN7rocprim17ROCPRIM_400000_NS13kernel_configILj256ELj16ELj4294967295EEELb0ENS0_6detail15normal_iteratorINS0_10device_ptrIKiEEEESD_PiSE_lNS9_INSA_IiEEEESE_NS0_4lessIiEENS2_16serial_set_unionENS5_6detail19lookback_scan_stateIlLb0ELb1EEEEEvT1_T2_T3_T4_T6_T7_T8_T9_PNS0_4pairIT5_SW_EEPSW_T10_NSK_16ordered_block_idIjEE
                                        ; -- End function
	.set _ZN6thrust23THRUST_200600_302600_NS11hip_rocprim16__set_operations22lookback_set_op_kernelIN7rocprim17ROCPRIM_400000_NS13kernel_configILj256ELj16ELj4294967295EEELb0ENS0_6detail15normal_iteratorINS0_10device_ptrIKiEEEESD_PiSE_lNS9_INSA_IiEEEESE_NS0_4lessIiEENS2_16serial_set_unionENS5_6detail19lookback_scan_stateIlLb0ELb1EEEEEvT1_T2_T3_T4_T6_T7_T8_T9_PNS0_4pairIT5_SW_EEPSW_T10_NSK_16ordered_block_idIjEE.num_vgpr, 81
	.set _ZN6thrust23THRUST_200600_302600_NS11hip_rocprim16__set_operations22lookback_set_op_kernelIN7rocprim17ROCPRIM_400000_NS13kernel_configILj256ELj16ELj4294967295EEELb0ENS0_6detail15normal_iteratorINS0_10device_ptrIKiEEEESD_PiSE_lNS9_INSA_IiEEEESE_NS0_4lessIiEENS2_16serial_set_unionENS5_6detail19lookback_scan_stateIlLb0ELb1EEEEEvT1_T2_T3_T4_T6_T7_T8_T9_PNS0_4pairIT5_SW_EEPSW_T10_NSK_16ordered_block_idIjEE.num_agpr, 0
	.set _ZN6thrust23THRUST_200600_302600_NS11hip_rocprim16__set_operations22lookback_set_op_kernelIN7rocprim17ROCPRIM_400000_NS13kernel_configILj256ELj16ELj4294967295EEELb0ENS0_6detail15normal_iteratorINS0_10device_ptrIKiEEEESD_PiSE_lNS9_INSA_IiEEEESE_NS0_4lessIiEENS2_16serial_set_unionENS5_6detail19lookback_scan_stateIlLb0ELb1EEEEEvT1_T2_T3_T4_T6_T7_T8_T9_PNS0_4pairIT5_SW_EEPSW_T10_NSK_16ordered_block_idIjEE.numbered_sgpr, 36
	.set _ZN6thrust23THRUST_200600_302600_NS11hip_rocprim16__set_operations22lookback_set_op_kernelIN7rocprim17ROCPRIM_400000_NS13kernel_configILj256ELj16ELj4294967295EEELb0ENS0_6detail15normal_iteratorINS0_10device_ptrIKiEEEESD_PiSE_lNS9_INSA_IiEEEESE_NS0_4lessIiEENS2_16serial_set_unionENS5_6detail19lookback_scan_stateIlLb0ELb1EEEEEvT1_T2_T3_T4_T6_T7_T8_T9_PNS0_4pairIT5_SW_EEPSW_T10_NSK_16ordered_block_idIjEE.num_named_barrier, 0
	.set _ZN6thrust23THRUST_200600_302600_NS11hip_rocprim16__set_operations22lookback_set_op_kernelIN7rocprim17ROCPRIM_400000_NS13kernel_configILj256ELj16ELj4294967295EEELb0ENS0_6detail15normal_iteratorINS0_10device_ptrIKiEEEESD_PiSE_lNS9_INSA_IiEEEESE_NS0_4lessIiEENS2_16serial_set_unionENS5_6detail19lookback_scan_stateIlLb0ELb1EEEEEvT1_T2_T3_T4_T6_T7_T8_T9_PNS0_4pairIT5_SW_EEPSW_T10_NSK_16ordered_block_idIjEE.private_seg_size, 0
	.set _ZN6thrust23THRUST_200600_302600_NS11hip_rocprim16__set_operations22lookback_set_op_kernelIN7rocprim17ROCPRIM_400000_NS13kernel_configILj256ELj16ELj4294967295EEELb0ENS0_6detail15normal_iteratorINS0_10device_ptrIKiEEEESD_PiSE_lNS9_INSA_IiEEEESE_NS0_4lessIiEENS2_16serial_set_unionENS5_6detail19lookback_scan_stateIlLb0ELb1EEEEEvT1_T2_T3_T4_T6_T7_T8_T9_PNS0_4pairIT5_SW_EEPSW_T10_NSK_16ordered_block_idIjEE.uses_vcc, 1
	.set _ZN6thrust23THRUST_200600_302600_NS11hip_rocprim16__set_operations22lookback_set_op_kernelIN7rocprim17ROCPRIM_400000_NS13kernel_configILj256ELj16ELj4294967295EEELb0ENS0_6detail15normal_iteratorINS0_10device_ptrIKiEEEESD_PiSE_lNS9_INSA_IiEEEESE_NS0_4lessIiEENS2_16serial_set_unionENS5_6detail19lookback_scan_stateIlLb0ELb1EEEEEvT1_T2_T3_T4_T6_T7_T8_T9_PNS0_4pairIT5_SW_EEPSW_T10_NSK_16ordered_block_idIjEE.uses_flat_scratch, 0
	.set _ZN6thrust23THRUST_200600_302600_NS11hip_rocprim16__set_operations22lookback_set_op_kernelIN7rocprim17ROCPRIM_400000_NS13kernel_configILj256ELj16ELj4294967295EEELb0ENS0_6detail15normal_iteratorINS0_10device_ptrIKiEEEESD_PiSE_lNS9_INSA_IiEEEESE_NS0_4lessIiEENS2_16serial_set_unionENS5_6detail19lookback_scan_stateIlLb0ELb1EEEEEvT1_T2_T3_T4_T6_T7_T8_T9_PNS0_4pairIT5_SW_EEPSW_T10_NSK_16ordered_block_idIjEE.has_dyn_sized_stack, 0
	.set _ZN6thrust23THRUST_200600_302600_NS11hip_rocprim16__set_operations22lookback_set_op_kernelIN7rocprim17ROCPRIM_400000_NS13kernel_configILj256ELj16ELj4294967295EEELb0ENS0_6detail15normal_iteratorINS0_10device_ptrIKiEEEESD_PiSE_lNS9_INSA_IiEEEESE_NS0_4lessIiEENS2_16serial_set_unionENS5_6detail19lookback_scan_stateIlLb0ELb1EEEEEvT1_T2_T3_T4_T6_T7_T8_T9_PNS0_4pairIT5_SW_EEPSW_T10_NSK_16ordered_block_idIjEE.has_recursion, 0
	.set _ZN6thrust23THRUST_200600_302600_NS11hip_rocprim16__set_operations22lookback_set_op_kernelIN7rocprim17ROCPRIM_400000_NS13kernel_configILj256ELj16ELj4294967295EEELb0ENS0_6detail15normal_iteratorINS0_10device_ptrIKiEEEESD_PiSE_lNS9_INSA_IiEEEESE_NS0_4lessIiEENS2_16serial_set_unionENS5_6detail19lookback_scan_stateIlLb0ELb1EEEEEvT1_T2_T3_T4_T6_T7_T8_T9_PNS0_4pairIT5_SW_EEPSW_T10_NSK_16ordered_block_idIjEE.has_indirect_call, 0
	.section	.AMDGPU.csdata,"",@progbits
; Kernel info:
; codeLenInByte = 21588
; TotalNumSgprs: 38
; NumVgprs: 81
; ScratchSize: 0
; MemoryBound: 0
; FloatMode: 240
; IeeeMode: 1
; LDSByteSize: 36868 bytes/workgroup (compile time only)
; SGPRBlocks: 0
; VGPRBlocks: 5
; NumSGPRsForWavesPerEU: 38
; NumVGPRsForWavesPerEU: 81
; NamedBarCnt: 0
; Occupancy: 10
; WaveLimiterHint : 1
; COMPUTE_PGM_RSRC2:SCRATCH_EN: 0
; COMPUTE_PGM_RSRC2:USER_SGPR: 2
; COMPUTE_PGM_RSRC2:TRAP_HANDLER: 0
; COMPUTE_PGM_RSRC2:TGID_X_EN: 1
; COMPUTE_PGM_RSRC2:TGID_Y_EN: 0
; COMPUTE_PGM_RSRC2:TGID_Z_EN: 0
; COMPUTE_PGM_RSRC2:TIDIG_COMP_CNT: 2
	.section	.text._ZN6thrust23THRUST_200600_302600_NS11hip_rocprim14__parallel_for6kernelILj256EZNS1_16__set_operations9doit_stepILb0ENS0_6detail15normal_iteratorINS0_10device_ptrIKiEEEESB_PiSC_lNS7_INS8_IiEEEESC_NS0_4lessIiEENS4_23serial_set_intersectionEEE10hipError_tPvRmT0_T1_T2_T3_T4_SP_T5_T6_PSP_T7_T8_P12ihipStream_tbEUllE_jLj1EEEvSL_SM_SM_,"axG",@progbits,_ZN6thrust23THRUST_200600_302600_NS11hip_rocprim14__parallel_for6kernelILj256EZNS1_16__set_operations9doit_stepILb0ENS0_6detail15normal_iteratorINS0_10device_ptrIKiEEEESB_PiSC_lNS7_INS8_IiEEEESC_NS0_4lessIiEENS4_23serial_set_intersectionEEE10hipError_tPvRmT0_T1_T2_T3_T4_SP_T5_T6_PSP_T7_T8_P12ihipStream_tbEUllE_jLj1EEEvSL_SM_SM_,comdat
	.protected	_ZN6thrust23THRUST_200600_302600_NS11hip_rocprim14__parallel_for6kernelILj256EZNS1_16__set_operations9doit_stepILb0ENS0_6detail15normal_iteratorINS0_10device_ptrIKiEEEESB_PiSC_lNS7_INS8_IiEEEESC_NS0_4lessIiEENS4_23serial_set_intersectionEEE10hipError_tPvRmT0_T1_T2_T3_T4_SP_T5_T6_PSP_T7_T8_P12ihipStream_tbEUllE_jLj1EEEvSL_SM_SM_ ; -- Begin function _ZN6thrust23THRUST_200600_302600_NS11hip_rocprim14__parallel_for6kernelILj256EZNS1_16__set_operations9doit_stepILb0ENS0_6detail15normal_iteratorINS0_10device_ptrIKiEEEESB_PiSC_lNS7_INS8_IiEEEESC_NS0_4lessIiEENS4_23serial_set_intersectionEEE10hipError_tPvRmT0_T1_T2_T3_T4_SP_T5_T6_PSP_T7_T8_P12ihipStream_tbEUllE_jLj1EEEvSL_SM_SM_
	.globl	_ZN6thrust23THRUST_200600_302600_NS11hip_rocprim14__parallel_for6kernelILj256EZNS1_16__set_operations9doit_stepILb0ENS0_6detail15normal_iteratorINS0_10device_ptrIKiEEEESB_PiSC_lNS7_INS8_IiEEEESC_NS0_4lessIiEENS4_23serial_set_intersectionEEE10hipError_tPvRmT0_T1_T2_T3_T4_SP_T5_T6_PSP_T7_T8_P12ihipStream_tbEUllE_jLj1EEEvSL_SM_SM_
	.p2align	8
	.type	_ZN6thrust23THRUST_200600_302600_NS11hip_rocprim14__parallel_for6kernelILj256EZNS1_16__set_operations9doit_stepILb0ENS0_6detail15normal_iteratorINS0_10device_ptrIKiEEEESB_PiSC_lNS7_INS8_IiEEEESC_NS0_4lessIiEENS4_23serial_set_intersectionEEE10hipError_tPvRmT0_T1_T2_T3_T4_SP_T5_T6_PSP_T7_T8_P12ihipStream_tbEUllE_jLj1EEEvSL_SM_SM_,@function
_ZN6thrust23THRUST_200600_302600_NS11hip_rocprim14__parallel_for6kernelILj256EZNS1_16__set_operations9doit_stepILb0ENS0_6detail15normal_iteratorINS0_10device_ptrIKiEEEESB_PiSC_lNS7_INS8_IiEEEESC_NS0_4lessIiEENS4_23serial_set_intersectionEEE10hipError_tPvRmT0_T1_T2_T3_T4_SP_T5_T6_PSP_T7_T8_P12ihipStream_tbEUllE_jLj1EEEvSL_SM_SM_: ; @_ZN6thrust23THRUST_200600_302600_NS11hip_rocprim14__parallel_for6kernelILj256EZNS1_16__set_operations9doit_stepILb0ENS0_6detail15normal_iteratorINS0_10device_ptrIKiEEEESB_PiSC_lNS7_INS8_IiEEEESC_NS0_4lessIiEENS4_23serial_set_intersectionEEE10hipError_tPvRmT0_T1_T2_T3_T4_SP_T5_T6_PSP_T7_T8_P12ihipStream_tbEUllE_jLj1EEEvSL_SM_SM_
; %bb.0:
	s_clause 0x2
	s_load_b64 s[12:13], s[0:1], 0x30
	s_load_b64 s[2:3], s[0:1], 0x20
	s_load_b256 s[4:11], s[0:1], 0x0
	s_wait_xcnt 0x0
	s_bfe_u32 s0, ttmp6, 0x4000c
	s_and_b32 s1, ttmp6, 15
	s_add_co_i32 s0, s0, 1
	s_getreg_b32 s14, hwreg(HW_REG_IB_STS2, 6, 4)
	s_mul_i32 s0, ttmp9, s0
	s_delay_alu instid0(SALU_CYCLE_1) | instskip(SKIP_2) | instid1(SALU_CYCLE_1)
	s_add_co_i32 s1, s1, s0
	s_cmp_eq_u32 s14, 0
	s_cselect_b32 s0, ttmp9, s1
	s_lshl_b32 s0, s0, 8
	s_wait_kmcnt 0x0
	s_add_co_i32 s1, s13, s0
	s_mov_b32 s0, -1
	s_sub_co_i32 s12, s12, s1
	s_delay_alu instid0(SALU_CYCLE_1)
	s_cmp_gt_u32 s12, 0xff
	s_cbranch_scc0 .LBB22_3
; %bb.1:
	s_and_not1_b32 vcc_lo, exec_lo, s0
	s_cbranch_vccz .LBB22_40
.LBB22_2:
	s_endpgm
.LBB22_3:
	v_cmp_gt_u32_e32 vcc_lo, s12, v0
	s_and_saveexec_b32 s12, vcc_lo
	s_cbranch_execz .LBB22_39
; %bb.4:
	v_dual_mov_b32 v7, 0 :: v_dual_add_nc_u32 v6, s1, v0
	s_add_nc_u64 s[14:15], s[6:7], s[4:5]
	s_mov_b32 s0, exec_lo
	s_delay_alu instid0(VALU_DEP_1) | instskip(NEXT) | instid1(VALU_DEP_1)
	v_mul_u64_e32 v[2:3], 0xfff, v[6:7]
	v_min_i64 v[4:5], s[14:15], v[2:3]
	s_delay_alu instid0(VALU_DEP_1) | instskip(SKIP_1) | instid1(VALU_DEP_2)
	v_sub_nc_u64_e64 v[2:3], v[4:5], s[6:7]
	v_min_i64 v[8:9], s[4:5], v[4:5]
	v_max_i64 v[2:3], v[2:3], 0
	s_delay_alu instid0(VALU_DEP_1)
	v_cmpx_lt_i64_e64 v[2:3], v[8:9]
	s_cbranch_execz .LBB22_8
; %bb.5:
	v_lshl_add_u64 v[10:11], v[4:5], 2, s[2:3]
	s_mov_b32 s13, 0
.LBB22_6:                               ; =>This Inner Loop Header: Depth=1
	v_add_nc_u64_e32 v[12:13], v[8:9], v[2:3]
	s_delay_alu instid0(VALU_DEP_1) | instskip(NEXT) | instid1(VALU_DEP_1)
	v_lshrrev_b64 v[12:13], 1, v[12:13]
	v_lshlrev_b64_e32 v[14:15], 2, v[12:13]
	s_delay_alu instid0(VALU_DEP_1) | instskip(NEXT) | instid1(VALU_DEP_2)
	v_xor_b32_e32 v17, -1, v15
	v_xor_b32_e32 v16, -4, v14
	v_add_nc_u64_e32 v[14:15], s[10:11], v[14:15]
	s_delay_alu instid0(VALU_DEP_2)
	v_add_nc_u64_e32 v[16:17], v[10:11], v[16:17]
	global_load_b32 v1, v[14:15], off
	global_load_b32 v18, v[16:17], off
	s_wait_xcnt 0x1
	v_add_nc_u64_e32 v[14:15], 1, v[12:13]
	s_wait_loadcnt 0x0
	v_cmp_lt_i32_e32 vcc_lo, v18, v1
	v_dual_cndmask_b32 v9, v9, v13 :: v_dual_cndmask_b32 v8, v8, v12
	s_delay_alu instid0(VALU_DEP_3) | instskip(NEXT) | instid1(VALU_DEP_1)
	v_dual_cndmask_b32 v3, v15, v3 :: v_dual_cndmask_b32 v2, v14, v2
	v_cmp_ge_i64_e32 vcc_lo, v[2:3], v[8:9]
	s_or_b32 s13, vcc_lo, s13
	s_delay_alu instid0(SALU_CYCLE_1)
	s_and_not1_b32 exec_lo, exec_lo, s13
	s_cbranch_execnz .LBB22_6
; %bb.7:
	s_or_b32 exec_lo, exec_lo, s13
.LBB22_8:
	s_delay_alu instid0(SALU_CYCLE_1) | instskip(SKIP_3) | instid1(VALU_DEP_2)
	s_or_b32 exec_lo, exec_lo, s0
	v_sub_nc_u64_e32 v[12:13], v[4:5], v[2:3]
	v_mov_b64_e32 v[8:9], 0
	s_mov_b32 s13, exec_lo
	v_cmpx_gt_i64_e64 s[6:7], v[12:13]
	s_cbranch_execz .LBB22_38
; %bb.9:
	v_lshl_add_u64 v[10:11], v[12:13], 2, s[2:3]
	v_mov_b64_e32 v[8:9], 0
	v_mov_b64_e32 v[14:15], 0
	s_mov_b32 s0, exec_lo
	global_load_b32 v1, v[10:11], off
	s_wait_xcnt 0x0
	v_cmpx_lt_i64_e32 0, v[2:3]
	s_cbranch_execnz .LBB22_14
; %bb.10:
	s_or_b32 exec_lo, exec_lo, s0
	s_delay_alu instid0(SALU_CYCLE_1)
	s_mov_b32 s0, exec_lo
	v_cmpx_lt_u64_e64 v[8:9], v[14:15]
	s_cbranch_execnz .LBB22_15
.LBB22_11:
	s_or_b32 exec_lo, exec_lo, s0
	s_delay_alu instid0(SALU_CYCLE_1)
	s_mov_b32 s0, exec_lo
	v_cmpx_lt_u64_e64 v[8:9], v[14:15]
	s_cbranch_execnz .LBB22_16
.LBB22_12:
	s_or_b32 exec_lo, exec_lo, s0
	s_delay_alu instid0(SALU_CYCLE_1)
	s_mov_b32 s0, exec_lo
	v_cmpx_lt_u64_e64 v[8:9], v[14:15]
	s_cbranch_execnz .LBB22_17
.LBB22_13:
	s_or_b32 exec_lo, exec_lo, s0
	s_delay_alu instid0(SALU_CYCLE_1)
	s_mov_b32 s0, exec_lo
	v_cmpx_lt_u64_e64 v[8:9], v[14:15]
	s_cbranch_execnz .LBB22_18
	s_branch .LBB22_21
.LBB22_14:
	v_mul_u64_e32 v[8:9], 0x1ff, v[2:3]
	s_delay_alu instid0(VALU_DEP_1) | instskip(NEXT) | instid1(VALU_DEP_1)
	v_lshrrev_b64 v[14:15], 9, v[8:9]
	v_lshl_add_u64 v[8:9], v[14:15], 2, s[10:11]
	global_load_b32 v16, v[8:9], off
	s_wait_xcnt 0x0
	v_add_nc_u64_e32 v[8:9], 1, v[14:15]
	s_wait_loadcnt 0x0
	v_cmp_lt_i32_e32 vcc_lo, v16, v1
	s_delay_alu instid0(VALU_DEP_2) | instskip(SKIP_2) | instid1(SALU_CYCLE_1)
	v_dual_cndmask_b32 v9, 0, v9 :: v_dual_cndmask_b32 v8, 0, v8
	v_dual_cndmask_b32 v15, v15, v3 :: v_dual_cndmask_b32 v14, v14, v2
	s_or_b32 exec_lo, exec_lo, s0
	s_mov_b32 s0, exec_lo
	s_delay_alu instid0(VALU_DEP_1)
	v_cmpx_lt_u64_e64 v[8:9], v[14:15]
	s_cbranch_execz .LBB22_11
.LBB22_15:
	v_mad_nc_u64_u32 v[16:17], 0x7f, v14, v[8:9]
	s_delay_alu instid0(VALU_DEP_1) | instskip(NEXT) | instid1(VALU_DEP_1)
	v_mad_u32 v17, 0x7f, v15, v17
	v_lshrrev_b64 v[16:17], 7, v[16:17]
	s_delay_alu instid0(VALU_DEP_1)
	v_lshl_add_u64 v[18:19], v[16:17], 2, s[10:11]
	global_load_b32 v20, v[18:19], off
	s_wait_xcnt 0x0
	v_add_nc_u64_e32 v[18:19], 1, v[16:17]
	s_wait_loadcnt 0x0
	v_cmp_lt_i32_e32 vcc_lo, v20, v1
	s_delay_alu instid0(VALU_DEP_2) | instskip(SKIP_2) | instid1(SALU_CYCLE_1)
	v_dual_cndmask_b32 v9, v9, v19 :: v_dual_cndmask_b32 v8, v8, v18
	v_dual_cndmask_b32 v15, v17, v15 :: v_dual_cndmask_b32 v14, v16, v14
	s_or_b32 exec_lo, exec_lo, s0
	s_mov_b32 s0, exec_lo
	s_delay_alu instid0(VALU_DEP_1)
	v_cmpx_lt_u64_e64 v[8:9], v[14:15]
	s_cbranch_execz .LBB22_12
.LBB22_16:
	v_mad_nc_u64_u32 v[16:17], v14, 31, v[8:9]
	s_delay_alu instid0(VALU_DEP_1) | instskip(NEXT) | instid1(VALU_DEP_1)
	v_mad_u32 v17, v15, 31, v17
	v_lshrrev_b64 v[16:17], 5, v[16:17]
	s_delay_alu instid0(VALU_DEP_1)
	v_lshl_add_u64 v[18:19], v[16:17], 2, s[10:11]
	global_load_b32 v20, v[18:19], off
	s_wait_xcnt 0x0
	v_add_nc_u64_e32 v[18:19], 1, v[16:17]
	s_wait_loadcnt 0x0
	v_cmp_lt_i32_e32 vcc_lo, v20, v1
	s_delay_alu instid0(VALU_DEP_2) | instskip(SKIP_2) | instid1(SALU_CYCLE_1)
	v_dual_cndmask_b32 v9, v9, v19 :: v_dual_cndmask_b32 v8, v8, v18
	v_dual_cndmask_b32 v15, v17, v15 :: v_dual_cndmask_b32 v14, v16, v14
	s_or_b32 exec_lo, exec_lo, s0
	s_mov_b32 s0, exec_lo
	s_delay_alu instid0(VALU_DEP_1)
	v_cmpx_lt_u64_e64 v[8:9], v[14:15]
	s_cbranch_execz .LBB22_13
.LBB22_17:
	v_mad_nc_u64_u32 v[16:17], v14, 15, v[8:9]
	s_delay_alu instid0(VALU_DEP_1) | instskip(NEXT) | instid1(VALU_DEP_1)
	v_mad_u32 v17, v15, 15, v17
	v_lshrrev_b64 v[16:17], 4, v[16:17]
	s_delay_alu instid0(VALU_DEP_1)
	v_lshl_add_u64 v[18:19], v[16:17], 2, s[10:11]
	global_load_b32 v20, v[18:19], off
	s_wait_xcnt 0x0
	v_add_nc_u64_e32 v[18:19], 1, v[16:17]
	s_wait_loadcnt 0x0
	v_cmp_lt_i32_e32 vcc_lo, v20, v1
	s_delay_alu instid0(VALU_DEP_2) | instskip(SKIP_2) | instid1(SALU_CYCLE_1)
	v_dual_cndmask_b32 v9, v9, v19 :: v_dual_cndmask_b32 v8, v8, v18
	v_dual_cndmask_b32 v15, v17, v15 :: v_dual_cndmask_b32 v14, v16, v14
	s_or_b32 exec_lo, exec_lo, s0
	s_mov_b32 s0, exec_lo
	s_delay_alu instid0(VALU_DEP_1)
	v_cmpx_lt_u64_e64 v[8:9], v[14:15]
	s_cbranch_execz .LBB22_21
.LBB22_18:
	s_mov_b32 s14, 0
.LBB22_19:                              ; =>This Inner Loop Header: Depth=1
	v_add_nc_u64_e32 v[16:17], v[8:9], v[14:15]
	s_delay_alu instid0(VALU_DEP_1) | instskip(NEXT) | instid1(VALU_DEP_1)
	v_lshrrev_b64 v[16:17], 1, v[16:17]
	v_lshl_add_u64 v[18:19], v[16:17], 2, s[10:11]
	global_load_b32 v20, v[18:19], off
	s_wait_xcnt 0x0
	v_add_nc_u64_e32 v[18:19], 1, v[16:17]
	s_wait_loadcnt 0x0
	v_cmp_lt_i32_e32 vcc_lo, v20, v1
	s_delay_alu instid0(VALU_DEP_2) | instskip(SKIP_1) | instid1(VALU_DEP_1)
	v_dual_cndmask_b32 v9, v9, v19 :: v_dual_cndmask_b32 v8, v8, v18
	v_dual_cndmask_b32 v15, v17, v15 :: v_dual_cndmask_b32 v14, v16, v14
	v_cmp_ge_i64_e32 vcc_lo, v[8:9], v[14:15]
	s_or_b32 s14, vcc_lo, s14
	s_delay_alu instid0(SALU_CYCLE_1)
	s_and_not1_b32 exec_lo, exec_lo, s14
	s_cbranch_execnz .LBB22_19
; %bb.20:
	s_or_b32 exec_lo, exec_lo, s14
.LBB22_21:
	s_delay_alu instid0(SALU_CYCLE_1)
	s_or_b32 exec_lo, exec_lo, s0
	v_mov_b64_e32 v[14:15], 0
	v_mov_b64_e32 v[16:17], v[12:13]
	s_mov_b32 s0, exec_lo
	v_cmpx_lt_i64_e32 0, v[12:13]
	s_cbranch_execnz .LBB22_26
; %bb.22:
	s_or_b32 exec_lo, exec_lo, s0
	s_delay_alu instid0(SALU_CYCLE_1) | instskip(NEXT) | instid1(VALU_DEP_2)
	s_mov_b32 s0, exec_lo
	v_cmpx_lt_i64_e64 v[14:15], v[16:17]
	s_cbranch_execnz .LBB22_27
.LBB22_23:
	s_or_b32 exec_lo, exec_lo, s0
	s_delay_alu instid0(SALU_CYCLE_1)
	s_mov_b32 s0, exec_lo
	v_cmpx_lt_i64_e64 v[14:15], v[16:17]
	s_cbranch_execnz .LBB22_28
.LBB22_24:
	s_or_b32 exec_lo, exec_lo, s0
	s_delay_alu instid0(SALU_CYCLE_1)
	s_mov_b32 s0, exec_lo
	v_cmpx_lt_i64_e64 v[14:15], v[16:17]
	s_cbranch_execnz .LBB22_29
.LBB22_25:
	s_or_b32 exec_lo, exec_lo, s0
	s_delay_alu instid0(SALU_CYCLE_1)
	s_mov_b32 s0, exec_lo
	v_cmpx_lt_i64_e64 v[14:15], v[16:17]
	s_cbranch_execnz .LBB22_30
	s_branch .LBB22_33
.LBB22_26:
	v_mul_u64_e32 v[14:15], 0x1ff, v[12:13]
	s_delay_alu instid0(VALU_DEP_1) | instskip(NEXT) | instid1(VALU_DEP_1)
	v_lshrrev_b64 v[16:17], 9, v[14:15]
	v_lshl_add_u64 v[14:15], v[16:17], 2, s[2:3]
	global_load_b32 v18, v[14:15], off
	s_wait_xcnt 0x0
	v_add_nc_u64_e32 v[14:15], 1, v[16:17]
	s_wait_loadcnt 0x0
	v_cmp_lt_i32_e32 vcc_lo, v18, v1
	s_delay_alu instid0(VALU_DEP_2) | instskip(SKIP_2) | instid1(SALU_CYCLE_1)
	v_dual_cndmask_b32 v15, 0, v15 :: v_dual_cndmask_b32 v14, 0, v14
	v_dual_cndmask_b32 v17, v17, v13 :: v_dual_cndmask_b32 v16, v16, v12
	s_or_b32 exec_lo, exec_lo, s0
	s_mov_b32 s0, exec_lo
	s_delay_alu instid0(VALU_DEP_1)
	v_cmpx_lt_i64_e64 v[14:15], v[16:17]
	s_cbranch_execz .LBB22_23
.LBB22_27:
	v_mad_nc_u64_u32 v[18:19], 0x7f, v16, v[14:15]
	s_delay_alu instid0(VALU_DEP_1) | instskip(NEXT) | instid1(VALU_DEP_1)
	v_mad_u32 v19, 0x7f, v17, v19
	v_lshrrev_b64 v[18:19], 7, v[18:19]
	s_delay_alu instid0(VALU_DEP_1)
	v_lshl_add_u64 v[20:21], v[18:19], 2, s[2:3]
	global_load_b32 v22, v[20:21], off
	s_wait_xcnt 0x0
	v_add_nc_u64_e32 v[20:21], 1, v[18:19]
	s_wait_loadcnt 0x0
	v_cmp_lt_i32_e32 vcc_lo, v22, v1
	s_delay_alu instid0(VALU_DEP_2) | instskip(SKIP_2) | instid1(SALU_CYCLE_1)
	v_dual_cndmask_b32 v15, v15, v21 :: v_dual_cndmask_b32 v14, v14, v20
	v_dual_cndmask_b32 v17, v19, v17 :: v_dual_cndmask_b32 v16, v18, v16
	s_or_b32 exec_lo, exec_lo, s0
	s_mov_b32 s0, exec_lo
	s_delay_alu instid0(VALU_DEP_1)
	v_cmpx_lt_i64_e64 v[14:15], v[16:17]
	s_cbranch_execz .LBB22_24
.LBB22_28:
	v_mad_nc_u64_u32 v[18:19], v16, 31, v[14:15]
	s_delay_alu instid0(VALU_DEP_1) | instskip(NEXT) | instid1(VALU_DEP_1)
	v_mad_u32 v19, v17, 31, v19
	v_lshrrev_b64 v[18:19], 5, v[18:19]
	s_delay_alu instid0(VALU_DEP_1)
	v_lshl_add_u64 v[20:21], v[18:19], 2, s[2:3]
	global_load_b32 v22, v[20:21], off
	s_wait_xcnt 0x0
	v_add_nc_u64_e32 v[20:21], 1, v[18:19]
	s_wait_loadcnt 0x0
	v_cmp_lt_i32_e32 vcc_lo, v22, v1
	s_delay_alu instid0(VALU_DEP_2) | instskip(SKIP_2) | instid1(SALU_CYCLE_1)
	v_dual_cndmask_b32 v15, v15, v21 :: v_dual_cndmask_b32 v14, v14, v20
	v_dual_cndmask_b32 v17, v19, v17 :: v_dual_cndmask_b32 v16, v18, v16
	s_or_b32 exec_lo, exec_lo, s0
	s_mov_b32 s0, exec_lo
	s_delay_alu instid0(VALU_DEP_1)
	v_cmpx_lt_i64_e64 v[14:15], v[16:17]
	s_cbranch_execz .LBB22_25
.LBB22_29:
	v_mad_nc_u64_u32 v[18:19], v16, 15, v[14:15]
	s_delay_alu instid0(VALU_DEP_1) | instskip(NEXT) | instid1(VALU_DEP_1)
	v_mad_u32 v19, v17, 15, v19
	v_lshrrev_b64 v[18:19], 4, v[18:19]
	s_delay_alu instid0(VALU_DEP_1)
	v_lshl_add_u64 v[20:21], v[18:19], 2, s[2:3]
	global_load_b32 v22, v[20:21], off
	s_wait_xcnt 0x0
	v_add_nc_u64_e32 v[20:21], 1, v[18:19]
	s_wait_loadcnt 0x0
	v_cmp_lt_i32_e32 vcc_lo, v22, v1
	s_delay_alu instid0(VALU_DEP_2) | instskip(SKIP_2) | instid1(SALU_CYCLE_1)
	v_dual_cndmask_b32 v15, v15, v21 :: v_dual_cndmask_b32 v14, v14, v20
	v_dual_cndmask_b32 v17, v19, v17 :: v_dual_cndmask_b32 v16, v18, v16
	s_or_b32 exec_lo, exec_lo, s0
	s_mov_b32 s0, exec_lo
	s_delay_alu instid0(VALU_DEP_1)
	v_cmpx_lt_i64_e64 v[14:15], v[16:17]
	s_cbranch_execz .LBB22_33
.LBB22_30:
	s_mov_b32 s14, 0
.LBB22_31:                              ; =>This Inner Loop Header: Depth=1
	v_add_nc_u64_e32 v[18:19], v[14:15], v[16:17]
	s_delay_alu instid0(VALU_DEP_1) | instskip(NEXT) | instid1(VALU_DEP_1)
	v_lshrrev_b64 v[18:19], 1, v[18:19]
	v_lshl_add_u64 v[20:21], v[18:19], 2, s[2:3]
	global_load_b32 v22, v[20:21], off
	s_wait_xcnt 0x0
	v_add_nc_u64_e32 v[20:21], 1, v[18:19]
	s_wait_loadcnt 0x0
	v_cmp_lt_i32_e32 vcc_lo, v22, v1
	s_delay_alu instid0(VALU_DEP_2) | instskip(SKIP_1) | instid1(VALU_DEP_1)
	v_dual_cndmask_b32 v15, v15, v21 :: v_dual_cndmask_b32 v14, v14, v20
	v_dual_cndmask_b32 v17, v19, v17 :: v_dual_cndmask_b32 v16, v18, v16
	v_cmp_ge_i64_e32 vcc_lo, v[14:15], v[16:17]
	s_or_b32 s14, vcc_lo, s14
	s_delay_alu instid0(SALU_CYCLE_1)
	s_and_not1_b32 exec_lo, exec_lo, s14
	s_cbranch_execnz .LBB22_31
; %bb.32:
	s_or_b32 exec_lo, exec_lo, s14
.LBB22_33:
	s_delay_alu instid0(SALU_CYCLE_1) | instskip(SKIP_3) | instid1(VALU_DEP_1)
	s_or_b32 exec_lo, exec_lo, s0
	v_sub_nc_u64_e32 v[2:3], v[2:3], v[8:9]
	v_sub_nc_u64_e32 v[18:19], v[12:13], v[14:15]
	s_mov_b32 s0, exec_lo
	v_add_nc_u64_e32 v[16:17], v[18:19], v[2:3]
	s_delay_alu instid0(VALU_DEP_1) | instskip(NEXT) | instid1(VALU_DEP_1)
	v_ashrrev_i64 v[2:3], 1, v[16:17]
	v_max_i64 v[2:3], v[2:3], v[18:19]
	s_delay_alu instid0(VALU_DEP_1) | instskip(NEXT) | instid1(VALU_DEP_1)
	v_add_nc_u64_e32 v[14:15], v[14:15], v[2:3]
	v_add_nc_u64_e32 v[14:15], 1, v[14:15]
	s_delay_alu instid0(VALU_DEP_1) | instskip(NEXT) | instid1(VALU_DEP_1)
	v_min_i64 v[14:15], v[14:15], s[6:7]
	v_sub_nc_u64_e32 v[14:15], v[14:15], v[12:13]
	v_mov_b64_e32 v[12:13], 0
	s_delay_alu instid0(VALU_DEP_2)
	v_cmpx_lt_i64_e32 0, v[14:15]
	s_cbranch_execz .LBB22_37
; %bb.34:
	v_mov_b64_e32 v[12:13], 0
	s_mov_b32 s14, 0
.LBB22_35:                              ; =>This Inner Loop Header: Depth=1
	s_delay_alu instid0(VALU_DEP_1) | instskip(NEXT) | instid1(VALU_DEP_1)
	v_add_nc_u64_e32 v[20:21], v[12:13], v[14:15]
	v_lshrrev_b64 v[20:21], 1, v[20:21]
	s_delay_alu instid0(VALU_DEP_1)
	v_lshl_add_u64 v[22:23], v[20:21], 2, v[10:11]
	global_load_b32 v24, v[22:23], off
	s_wait_xcnt 0x0
	v_add_nc_u64_e32 v[22:23], 1, v[20:21]
	s_wait_loadcnt 0x0
	v_cmp_lt_i32_e32 vcc_lo, v1, v24
	s_delay_alu instid0(VALU_DEP_2) | instskip(SKIP_1) | instid1(VALU_DEP_1)
	v_dual_cndmask_b32 v13, v23, v13 :: v_dual_cndmask_b32 v12, v22, v12
	v_dual_cndmask_b32 v15, v15, v21 :: v_dual_cndmask_b32 v14, v14, v20
	v_cmp_ge_i64_e32 vcc_lo, v[12:13], v[14:15]
	s_or_b32 s14, vcc_lo, s14
	s_delay_alu instid0(SALU_CYCLE_1)
	s_and_not1_b32 exec_lo, exec_lo, s14
	s_cbranch_execnz .LBB22_35
; %bb.36:
	s_or_b32 exec_lo, exec_lo, s14
	v_ashrrev_i32_e32 v13, 31, v12
.LBB22_37:
	s_or_b32 exec_lo, exec_lo, s0
	s_delay_alu instid0(VALU_DEP_1) | instskip(SKIP_1) | instid1(VALU_DEP_1)
	v_add_nc_u64_e32 v[10:11], v[12:13], v[18:19]
	s_mov_b32 s14, 0
	v_min_i64 v[12:13], v[10:11], v[2:3]
	v_cmp_lt_i64_e32 vcc_lo, v[2:3], v[10:11]
	s_delay_alu instid0(VALU_DEP_2) | instskip(SKIP_1) | instid1(VALU_DEP_2)
	v_sub_nc_u64_e32 v[14:15], v[16:17], v[12:13]
	v_add_nc_u64_e32 v[12:13], 1, v[12:13]
	v_add_nc_u64_e32 v[2:3], v[14:15], v[8:9]
	s_delay_alu instid0(VALU_DEP_2) | instskip(SKIP_2) | instid1(SALU_CYCLE_1)
	v_cmp_eq_u64_e64 s0, v[14:15], v[12:13]
	v_mov_b32_e32 v9, s14
	s_and_b32 s0, s0, vcc_lo
	v_cndmask_b32_e64 v8, 0, 1, s0
.LBB22_38:
	s_or_b32 exec_lo, exec_lo, s13
	s_delay_alu instid0(VALU_DEP_1) | instskip(SKIP_1) | instid1(VALU_DEP_2)
	v_add_nc_u64_e32 v[4:5], v[8:9], v[4:5]
	v_lshl_add_u64 v[6:7], v[6:7], 4, s[8:9]
	v_sub_nc_u64_e32 v[4:5], v[4:5], v[2:3]
	global_store_b128 v[6:7], v[2:5], off
.LBB22_39:
	s_wait_xcnt 0x0
	s_or_b32 exec_lo, exec_lo, s12
	s_cbranch_execnz .LBB22_2
.LBB22_40:
	v_dual_mov_b32 v5, 0 :: v_dual_add_nc_u32 v4, s1, v0
	s_add_nc_u64 s[0:1], s[6:7], s[4:5]
	s_wait_loadcnt 0x0
	s_delay_alu instid0(VALU_DEP_1) | instskip(NEXT) | instid1(VALU_DEP_1)
	v_mul_u64_e32 v[0:1], 0xfff, v[4:5]
	v_min_i64 v[2:3], s[0:1], v[0:1]
	s_mov_b32 s0, exec_lo
	s_delay_alu instid0(VALU_DEP_1) | instskip(SKIP_1) | instid1(VALU_DEP_2)
	v_sub_nc_u64_e64 v[0:1], v[2:3], s[6:7]
	v_min_i64 v[6:7], s[4:5], v[2:3]
	v_max_i64 v[0:1], v[0:1], 0
	s_delay_alu instid0(VALU_DEP_1)
	v_cmpx_lt_i64_e64 v[0:1], v[6:7]
	s_cbranch_execz .LBB22_44
; %bb.41:
	v_lshl_add_u64 v[8:9], v[2:3], 2, s[2:3]
	s_mov_b32 s1, 0
.LBB22_42:                              ; =>This Inner Loop Header: Depth=1
	v_add_nc_u64_e32 v[10:11], v[6:7], v[0:1]
	s_delay_alu instid0(VALU_DEP_1) | instskip(NEXT) | instid1(VALU_DEP_1)
	v_lshrrev_b64 v[10:11], 1, v[10:11]
	v_lshlrev_b64_e32 v[12:13], 2, v[10:11]
	s_delay_alu instid0(VALU_DEP_1) | instskip(NEXT) | instid1(VALU_DEP_2)
	v_xor_b32_e32 v15, -1, v13
	v_xor_b32_e32 v14, -4, v12
	v_add_nc_u64_e32 v[12:13], s[10:11], v[12:13]
	s_delay_alu instid0(VALU_DEP_2)
	v_add_nc_u64_e32 v[14:15], v[8:9], v[14:15]
	global_load_b32 v16, v[12:13], off
	global_load_b32 v17, v[14:15], off
	s_wait_xcnt 0x1
	v_add_nc_u64_e32 v[12:13], 1, v[10:11]
	s_wait_loadcnt 0x0
	v_cmp_lt_i32_e32 vcc_lo, v17, v16
	v_dual_cndmask_b32 v7, v7, v11 :: v_dual_cndmask_b32 v6, v6, v10
	s_delay_alu instid0(VALU_DEP_3) | instskip(NEXT) | instid1(VALU_DEP_1)
	v_dual_cndmask_b32 v1, v13, v1 :: v_dual_cndmask_b32 v0, v12, v0
	v_cmp_ge_i64_e32 vcc_lo, v[0:1], v[6:7]
	s_or_b32 s1, vcc_lo, s1
	s_wait_xcnt 0x0
	s_and_not1_b32 exec_lo, exec_lo, s1
	s_cbranch_execnz .LBB22_42
; %bb.43:
	s_or_b32 exec_lo, exec_lo, s1
.LBB22_44:
	s_delay_alu instid0(SALU_CYCLE_1) | instskip(SKIP_3) | instid1(VALU_DEP_2)
	s_or_b32 exec_lo, exec_lo, s0
	v_sub_nc_u64_e32 v[10:11], v[2:3], v[0:1]
	v_mov_b64_e32 v[6:7], 0
	s_mov_b32 s1, exec_lo
	v_cmpx_gt_i64_e64 s[6:7], v[10:11]
	s_cbranch_execz .LBB22_74
; %bb.45:
	v_lshl_add_u64 v[8:9], v[10:11], 2, s[2:3]
	v_mov_b64_e32 v[6:7], 0
	v_mov_b64_e32 v[12:13], 0
	s_mov_b32 s0, exec_lo
	global_load_b32 v18, v[8:9], off
	s_wait_xcnt 0x0
	v_cmpx_lt_i64_e32 0, v[0:1]
	s_cbranch_execnz .LBB22_50
; %bb.46:
	s_or_b32 exec_lo, exec_lo, s0
	s_delay_alu instid0(SALU_CYCLE_1)
	s_mov_b32 s0, exec_lo
	v_cmpx_lt_u64_e64 v[6:7], v[12:13]
	s_cbranch_execnz .LBB22_51
.LBB22_47:
	s_or_b32 exec_lo, exec_lo, s0
	s_delay_alu instid0(SALU_CYCLE_1)
	s_mov_b32 s0, exec_lo
	v_cmpx_lt_u64_e64 v[6:7], v[12:13]
	s_cbranch_execnz .LBB22_52
.LBB22_48:
	s_or_b32 exec_lo, exec_lo, s0
	s_delay_alu instid0(SALU_CYCLE_1)
	s_mov_b32 s0, exec_lo
	v_cmpx_lt_u64_e64 v[6:7], v[12:13]
	s_cbranch_execnz .LBB22_53
.LBB22_49:
	s_or_b32 exec_lo, exec_lo, s0
	s_delay_alu instid0(SALU_CYCLE_1)
	s_mov_b32 s0, exec_lo
	v_cmpx_lt_u64_e64 v[6:7], v[12:13]
	s_cbranch_execnz .LBB22_54
	s_branch .LBB22_57
.LBB22_50:
	v_mul_u64_e32 v[6:7], 0x1ff, v[0:1]
	s_delay_alu instid0(VALU_DEP_1) | instskip(NEXT) | instid1(VALU_DEP_1)
	v_lshrrev_b64 v[12:13], 9, v[6:7]
	v_lshl_add_u64 v[6:7], v[12:13], 2, s[10:11]
	global_load_b32 v14, v[6:7], off
	s_wait_xcnt 0x0
	v_add_nc_u64_e32 v[6:7], 1, v[12:13]
	s_wait_loadcnt 0x0
	v_cmp_lt_i32_e32 vcc_lo, v14, v18
	s_delay_alu instid0(VALU_DEP_2) | instskip(SKIP_2) | instid1(SALU_CYCLE_1)
	v_dual_cndmask_b32 v7, 0, v7 :: v_dual_cndmask_b32 v6, 0, v6
	v_dual_cndmask_b32 v13, v13, v1 :: v_dual_cndmask_b32 v12, v12, v0
	s_or_b32 exec_lo, exec_lo, s0
	s_mov_b32 s0, exec_lo
	s_delay_alu instid0(VALU_DEP_1)
	v_cmpx_lt_u64_e64 v[6:7], v[12:13]
	s_cbranch_execz .LBB22_47
.LBB22_51:
	v_mad_nc_u64_u32 v[14:15], 0x7f, v12, v[6:7]
	s_delay_alu instid0(VALU_DEP_1) | instskip(NEXT) | instid1(VALU_DEP_1)
	v_mad_u32 v15, 0x7f, v13, v15
	v_lshrrev_b64 v[14:15], 7, v[14:15]
	s_delay_alu instid0(VALU_DEP_1)
	v_lshl_add_u64 v[16:17], v[14:15], 2, s[10:11]
	global_load_b32 v19, v[16:17], off
	s_wait_xcnt 0x0
	v_add_nc_u64_e32 v[16:17], 1, v[14:15]
	s_wait_loadcnt 0x0
	v_cmp_lt_i32_e32 vcc_lo, v19, v18
	s_delay_alu instid0(VALU_DEP_2) | instskip(SKIP_2) | instid1(SALU_CYCLE_1)
	v_dual_cndmask_b32 v7, v7, v17 :: v_dual_cndmask_b32 v6, v6, v16
	v_dual_cndmask_b32 v13, v15, v13 :: v_dual_cndmask_b32 v12, v14, v12
	s_or_b32 exec_lo, exec_lo, s0
	s_mov_b32 s0, exec_lo
	s_delay_alu instid0(VALU_DEP_1)
	v_cmpx_lt_u64_e64 v[6:7], v[12:13]
	s_cbranch_execz .LBB22_48
.LBB22_52:
	v_mad_nc_u64_u32 v[14:15], v12, 31, v[6:7]
	s_delay_alu instid0(VALU_DEP_1) | instskip(NEXT) | instid1(VALU_DEP_1)
	v_mad_u32 v15, v13, 31, v15
	v_lshrrev_b64 v[14:15], 5, v[14:15]
	s_delay_alu instid0(VALU_DEP_1)
	v_lshl_add_u64 v[16:17], v[14:15], 2, s[10:11]
	global_load_b32 v19, v[16:17], off
	s_wait_xcnt 0x0
	v_add_nc_u64_e32 v[16:17], 1, v[14:15]
	s_wait_loadcnt 0x0
	v_cmp_lt_i32_e32 vcc_lo, v19, v18
	s_delay_alu instid0(VALU_DEP_2) | instskip(SKIP_2) | instid1(SALU_CYCLE_1)
	v_dual_cndmask_b32 v7, v7, v17 :: v_dual_cndmask_b32 v6, v6, v16
	v_dual_cndmask_b32 v13, v15, v13 :: v_dual_cndmask_b32 v12, v14, v12
	s_or_b32 exec_lo, exec_lo, s0
	s_mov_b32 s0, exec_lo
	s_delay_alu instid0(VALU_DEP_1)
	v_cmpx_lt_u64_e64 v[6:7], v[12:13]
	s_cbranch_execz .LBB22_49
.LBB22_53:
	v_mad_nc_u64_u32 v[14:15], v12, 15, v[6:7]
	s_delay_alu instid0(VALU_DEP_1) | instskip(NEXT) | instid1(VALU_DEP_1)
	v_mad_u32 v15, v13, 15, v15
	v_lshrrev_b64 v[14:15], 4, v[14:15]
	s_delay_alu instid0(VALU_DEP_1)
	v_lshl_add_u64 v[16:17], v[14:15], 2, s[10:11]
	global_load_b32 v19, v[16:17], off
	s_wait_xcnt 0x0
	v_add_nc_u64_e32 v[16:17], 1, v[14:15]
	s_wait_loadcnt 0x0
	v_cmp_lt_i32_e32 vcc_lo, v19, v18
	s_delay_alu instid0(VALU_DEP_2) | instskip(SKIP_2) | instid1(SALU_CYCLE_1)
	v_dual_cndmask_b32 v7, v7, v17 :: v_dual_cndmask_b32 v6, v6, v16
	v_dual_cndmask_b32 v13, v15, v13 :: v_dual_cndmask_b32 v12, v14, v12
	s_or_b32 exec_lo, exec_lo, s0
	s_mov_b32 s0, exec_lo
	s_delay_alu instid0(VALU_DEP_1)
	v_cmpx_lt_u64_e64 v[6:7], v[12:13]
	s_cbranch_execz .LBB22_57
.LBB22_54:
	s_mov_b32 s4, 0
.LBB22_55:                              ; =>This Inner Loop Header: Depth=1
	v_add_nc_u64_e32 v[14:15], v[6:7], v[12:13]
	s_delay_alu instid0(VALU_DEP_1) | instskip(NEXT) | instid1(VALU_DEP_1)
	v_lshrrev_b64 v[14:15], 1, v[14:15]
	v_lshl_add_u64 v[16:17], v[14:15], 2, s[10:11]
	global_load_b32 v19, v[16:17], off
	s_wait_xcnt 0x0
	v_add_nc_u64_e32 v[16:17], 1, v[14:15]
	s_wait_loadcnt 0x0
	v_cmp_lt_i32_e32 vcc_lo, v19, v18
	s_delay_alu instid0(VALU_DEP_2) | instskip(SKIP_1) | instid1(VALU_DEP_1)
	v_dual_cndmask_b32 v7, v7, v17 :: v_dual_cndmask_b32 v6, v6, v16
	v_dual_cndmask_b32 v13, v15, v13 :: v_dual_cndmask_b32 v12, v14, v12
	v_cmp_ge_i64_e32 vcc_lo, v[6:7], v[12:13]
	s_or_b32 s4, vcc_lo, s4
	s_delay_alu instid0(SALU_CYCLE_1)
	s_and_not1_b32 exec_lo, exec_lo, s4
	s_cbranch_execnz .LBB22_55
; %bb.56:
	s_or_b32 exec_lo, exec_lo, s4
.LBB22_57:
	s_delay_alu instid0(SALU_CYCLE_1)
	s_or_b32 exec_lo, exec_lo, s0
	v_mov_b64_e32 v[12:13], 0
	v_mov_b64_e32 v[14:15], v[10:11]
	s_mov_b32 s0, exec_lo
	v_cmpx_lt_i64_e32 0, v[10:11]
	s_cbranch_execnz .LBB22_62
; %bb.58:
	s_or_b32 exec_lo, exec_lo, s0
	s_delay_alu instid0(SALU_CYCLE_1) | instskip(NEXT) | instid1(VALU_DEP_2)
	s_mov_b32 s0, exec_lo
	v_cmpx_lt_i64_e64 v[12:13], v[14:15]
	s_cbranch_execnz .LBB22_63
.LBB22_59:
	s_or_b32 exec_lo, exec_lo, s0
	s_delay_alu instid0(SALU_CYCLE_1)
	s_mov_b32 s0, exec_lo
	v_cmpx_lt_i64_e64 v[12:13], v[14:15]
	s_cbranch_execnz .LBB22_64
.LBB22_60:
	s_or_b32 exec_lo, exec_lo, s0
	s_delay_alu instid0(SALU_CYCLE_1)
	s_mov_b32 s0, exec_lo
	v_cmpx_lt_i64_e64 v[12:13], v[14:15]
	s_cbranch_execnz .LBB22_65
.LBB22_61:
	s_or_b32 exec_lo, exec_lo, s0
	s_delay_alu instid0(SALU_CYCLE_1)
	s_mov_b32 s0, exec_lo
	v_cmpx_lt_i64_e64 v[12:13], v[14:15]
	s_cbranch_execnz .LBB22_66
	s_branch .LBB22_69
.LBB22_62:
	v_mul_u64_e32 v[12:13], 0x1ff, v[10:11]
	s_delay_alu instid0(VALU_DEP_1) | instskip(NEXT) | instid1(VALU_DEP_1)
	v_lshrrev_b64 v[14:15], 9, v[12:13]
	v_lshl_add_u64 v[12:13], v[14:15], 2, s[2:3]
	global_load_b32 v16, v[12:13], off
	s_wait_xcnt 0x0
	v_add_nc_u64_e32 v[12:13], 1, v[14:15]
	s_wait_loadcnt 0x0
	v_cmp_lt_i32_e32 vcc_lo, v16, v18
	s_delay_alu instid0(VALU_DEP_2) | instskip(SKIP_2) | instid1(SALU_CYCLE_1)
	v_dual_cndmask_b32 v13, 0, v13 :: v_dual_cndmask_b32 v12, 0, v12
	v_dual_cndmask_b32 v15, v15, v11 :: v_dual_cndmask_b32 v14, v14, v10
	s_or_b32 exec_lo, exec_lo, s0
	s_mov_b32 s0, exec_lo
	s_delay_alu instid0(VALU_DEP_1)
	v_cmpx_lt_i64_e64 v[12:13], v[14:15]
	s_cbranch_execz .LBB22_59
.LBB22_63:
	v_mad_nc_u64_u32 v[16:17], 0x7f, v14, v[12:13]
	s_delay_alu instid0(VALU_DEP_1) | instskip(NEXT) | instid1(VALU_DEP_1)
	v_mad_u32 v17, 0x7f, v15, v17
	v_lshrrev_b64 v[16:17], 7, v[16:17]
	s_delay_alu instid0(VALU_DEP_1)
	v_lshl_add_u64 v[20:21], v[16:17], 2, s[2:3]
	global_load_b32 v19, v[20:21], off
	s_wait_xcnt 0x0
	v_add_nc_u64_e32 v[20:21], 1, v[16:17]
	s_wait_loadcnt 0x0
	v_cmp_lt_i32_e32 vcc_lo, v19, v18
	s_delay_alu instid0(VALU_DEP_2) | instskip(SKIP_2) | instid1(SALU_CYCLE_1)
	v_dual_cndmask_b32 v13, v13, v21 :: v_dual_cndmask_b32 v12, v12, v20
	v_dual_cndmask_b32 v15, v17, v15 :: v_dual_cndmask_b32 v14, v16, v14
	s_or_b32 exec_lo, exec_lo, s0
	s_mov_b32 s0, exec_lo
	s_delay_alu instid0(VALU_DEP_1)
	v_cmpx_lt_i64_e64 v[12:13], v[14:15]
	s_cbranch_execz .LBB22_60
.LBB22_64:
	v_mad_nc_u64_u32 v[16:17], v14, 31, v[12:13]
	s_delay_alu instid0(VALU_DEP_1) | instskip(NEXT) | instid1(VALU_DEP_1)
	v_mad_u32 v17, v15, 31, v17
	v_lshrrev_b64 v[16:17], 5, v[16:17]
	s_delay_alu instid0(VALU_DEP_1)
	v_lshl_add_u64 v[20:21], v[16:17], 2, s[2:3]
	global_load_b32 v19, v[20:21], off
	s_wait_xcnt 0x0
	v_add_nc_u64_e32 v[20:21], 1, v[16:17]
	s_wait_loadcnt 0x0
	v_cmp_lt_i32_e32 vcc_lo, v19, v18
	s_delay_alu instid0(VALU_DEP_2) | instskip(SKIP_2) | instid1(SALU_CYCLE_1)
	v_dual_cndmask_b32 v13, v13, v21 :: v_dual_cndmask_b32 v12, v12, v20
	v_dual_cndmask_b32 v15, v17, v15 :: v_dual_cndmask_b32 v14, v16, v14
	s_or_b32 exec_lo, exec_lo, s0
	s_mov_b32 s0, exec_lo
	s_delay_alu instid0(VALU_DEP_1)
	v_cmpx_lt_i64_e64 v[12:13], v[14:15]
	s_cbranch_execz .LBB22_61
.LBB22_65:
	v_mad_nc_u64_u32 v[16:17], v14, 15, v[12:13]
	s_delay_alu instid0(VALU_DEP_1) | instskip(NEXT) | instid1(VALU_DEP_1)
	v_mad_u32 v17, v15, 15, v17
	v_lshrrev_b64 v[16:17], 4, v[16:17]
	s_delay_alu instid0(VALU_DEP_1)
	v_lshl_add_u64 v[20:21], v[16:17], 2, s[2:3]
	global_load_b32 v19, v[20:21], off
	s_wait_xcnt 0x0
	v_add_nc_u64_e32 v[20:21], 1, v[16:17]
	s_wait_loadcnt 0x0
	v_cmp_lt_i32_e32 vcc_lo, v19, v18
	s_delay_alu instid0(VALU_DEP_2) | instskip(SKIP_2) | instid1(SALU_CYCLE_1)
	v_dual_cndmask_b32 v13, v13, v21 :: v_dual_cndmask_b32 v12, v12, v20
	v_dual_cndmask_b32 v15, v17, v15 :: v_dual_cndmask_b32 v14, v16, v14
	s_or_b32 exec_lo, exec_lo, s0
	s_mov_b32 s0, exec_lo
	s_delay_alu instid0(VALU_DEP_1)
	v_cmpx_lt_i64_e64 v[12:13], v[14:15]
	s_cbranch_execz .LBB22_69
.LBB22_66:
	s_mov_b32 s4, 0
.LBB22_67:                              ; =>This Inner Loop Header: Depth=1
	v_add_nc_u64_e32 v[16:17], v[12:13], v[14:15]
	s_delay_alu instid0(VALU_DEP_1) | instskip(NEXT) | instid1(VALU_DEP_1)
	v_lshrrev_b64 v[16:17], 1, v[16:17]
	v_lshl_add_u64 v[20:21], v[16:17], 2, s[2:3]
	global_load_b32 v19, v[20:21], off
	s_wait_xcnt 0x0
	v_add_nc_u64_e32 v[20:21], 1, v[16:17]
	s_wait_loadcnt 0x0
	v_cmp_lt_i32_e32 vcc_lo, v19, v18
	s_delay_alu instid0(VALU_DEP_2) | instskip(SKIP_1) | instid1(VALU_DEP_1)
	v_dual_cndmask_b32 v13, v13, v21 :: v_dual_cndmask_b32 v12, v12, v20
	v_dual_cndmask_b32 v15, v17, v15 :: v_dual_cndmask_b32 v14, v16, v14
	v_cmp_ge_i64_e32 vcc_lo, v[12:13], v[14:15]
	s_or_b32 s4, vcc_lo, s4
	s_delay_alu instid0(SALU_CYCLE_1)
	s_and_not1_b32 exec_lo, exec_lo, s4
	s_cbranch_execnz .LBB22_67
; %bb.68:
	s_or_b32 exec_lo, exec_lo, s4
.LBB22_69:
	s_delay_alu instid0(SALU_CYCLE_1) | instskip(SKIP_3) | instid1(VALU_DEP_1)
	s_or_b32 exec_lo, exec_lo, s0
	v_sub_nc_u64_e32 v[0:1], v[0:1], v[6:7]
	v_sub_nc_u64_e32 v[16:17], v[10:11], v[12:13]
	s_mov_b32 s0, exec_lo
	v_add_nc_u64_e32 v[14:15], v[16:17], v[0:1]
	s_delay_alu instid0(VALU_DEP_1) | instskip(NEXT) | instid1(VALU_DEP_1)
	v_ashrrev_i64 v[0:1], 1, v[14:15]
	v_max_i64 v[0:1], v[0:1], v[16:17]
	s_delay_alu instid0(VALU_DEP_1) | instskip(NEXT) | instid1(VALU_DEP_1)
	v_add_nc_u64_e32 v[12:13], v[12:13], v[0:1]
	v_add_nc_u64_e32 v[12:13], 1, v[12:13]
	s_delay_alu instid0(VALU_DEP_1) | instskip(NEXT) | instid1(VALU_DEP_1)
	v_min_i64 v[12:13], v[12:13], s[6:7]
	v_sub_nc_u64_e32 v[12:13], v[12:13], v[10:11]
	v_mov_b64_e32 v[10:11], 0
	s_delay_alu instid0(VALU_DEP_2)
	v_cmpx_lt_i64_e32 0, v[12:13]
	s_cbranch_execz .LBB22_73
; %bb.70:
	v_mov_b64_e32 v[10:11], 0
	s_mov_b32 s2, 0
.LBB22_71:                              ; =>This Inner Loop Header: Depth=1
	s_delay_alu instid0(VALU_DEP_1) | instskip(NEXT) | instid1(VALU_DEP_1)
	v_add_nc_u64_e32 v[20:21], v[10:11], v[12:13]
	v_lshrrev_b64 v[20:21], 1, v[20:21]
	s_delay_alu instid0(VALU_DEP_1)
	v_lshl_add_u64 v[22:23], v[20:21], 2, v[8:9]
	global_load_b32 v19, v[22:23], off
	s_wait_xcnt 0x0
	v_add_nc_u64_e32 v[22:23], 1, v[20:21]
	s_wait_loadcnt 0x0
	v_cmp_lt_i32_e32 vcc_lo, v18, v19
	s_delay_alu instid0(VALU_DEP_2) | instskip(SKIP_1) | instid1(VALU_DEP_1)
	v_dual_cndmask_b32 v11, v23, v11 :: v_dual_cndmask_b32 v10, v22, v10
	v_dual_cndmask_b32 v13, v13, v21 :: v_dual_cndmask_b32 v12, v12, v20
	v_cmp_ge_i64_e32 vcc_lo, v[10:11], v[12:13]
	s_or_b32 s2, vcc_lo, s2
	s_delay_alu instid0(SALU_CYCLE_1)
	s_and_not1_b32 exec_lo, exec_lo, s2
	s_cbranch_execnz .LBB22_71
; %bb.72:
	s_or_b32 exec_lo, exec_lo, s2
	v_ashrrev_i32_e32 v11, 31, v10
.LBB22_73:
	s_or_b32 exec_lo, exec_lo, s0
	s_delay_alu instid0(VALU_DEP_1) | instskip(SKIP_1) | instid1(VALU_DEP_1)
	v_add_nc_u64_e32 v[8:9], v[10:11], v[16:17]
	s_mov_b32 s2, 0
	v_min_i64 v[10:11], v[8:9], v[0:1]
	v_cmp_lt_i64_e32 vcc_lo, v[0:1], v[8:9]
	s_delay_alu instid0(VALU_DEP_2) | instskip(SKIP_1) | instid1(VALU_DEP_2)
	v_sub_nc_u64_e32 v[12:13], v[14:15], v[10:11]
	v_add_nc_u64_e32 v[10:11], 1, v[10:11]
	v_add_nc_u64_e32 v[0:1], v[12:13], v[6:7]
	s_delay_alu instid0(VALU_DEP_2) | instskip(SKIP_2) | instid1(SALU_CYCLE_1)
	v_cmp_eq_u64_e64 s0, v[12:13], v[10:11]
	v_mov_b32_e32 v7, s2
	s_and_b32 s0, s0, vcc_lo
	v_cndmask_b32_e64 v6, 0, 1, s0
.LBB22_74:
	s_or_b32 exec_lo, exec_lo, s1
	s_delay_alu instid0(VALU_DEP_1) | instskip(SKIP_1) | instid1(VALU_DEP_2)
	v_add_nc_u64_e32 v[2:3], v[6:7], v[2:3]
	v_lshl_add_u64 v[4:5], v[4:5], 4, s[8:9]
	v_sub_nc_u64_e32 v[2:3], v[2:3], v[0:1]
	global_store_b128 v[4:5], v[0:3], off
	s_endpgm
	.section	.rodata,"a",@progbits
	.p2align	6, 0x0
	.amdhsa_kernel _ZN6thrust23THRUST_200600_302600_NS11hip_rocprim14__parallel_for6kernelILj256EZNS1_16__set_operations9doit_stepILb0ENS0_6detail15normal_iteratorINS0_10device_ptrIKiEEEESB_PiSC_lNS7_INS8_IiEEEESC_NS0_4lessIiEENS4_23serial_set_intersectionEEE10hipError_tPvRmT0_T1_T2_T3_T4_SP_T5_T6_PSP_T7_T8_P12ihipStream_tbEUllE_jLj1EEEvSL_SM_SM_
		.amdhsa_group_segment_fixed_size 0
		.amdhsa_private_segment_fixed_size 0
		.amdhsa_kernarg_size 56
		.amdhsa_user_sgpr_count 2
		.amdhsa_user_sgpr_dispatch_ptr 0
		.amdhsa_user_sgpr_queue_ptr 0
		.amdhsa_user_sgpr_kernarg_segment_ptr 1
		.amdhsa_user_sgpr_dispatch_id 0
		.amdhsa_user_sgpr_kernarg_preload_length 0
		.amdhsa_user_sgpr_kernarg_preload_offset 0
		.amdhsa_user_sgpr_private_segment_size 0
		.amdhsa_wavefront_size32 1
		.amdhsa_uses_dynamic_stack 0
		.amdhsa_enable_private_segment 0
		.amdhsa_system_sgpr_workgroup_id_x 1
		.amdhsa_system_sgpr_workgroup_id_y 0
		.amdhsa_system_sgpr_workgroup_id_z 0
		.amdhsa_system_sgpr_workgroup_info 0
		.amdhsa_system_vgpr_workitem_id 0
		.amdhsa_next_free_vgpr 25
		.amdhsa_next_free_sgpr 16
		.amdhsa_named_barrier_count 0
		.amdhsa_reserve_vcc 1
		.amdhsa_float_round_mode_32 0
		.amdhsa_float_round_mode_16_64 0
		.amdhsa_float_denorm_mode_32 3
		.amdhsa_float_denorm_mode_16_64 3
		.amdhsa_fp16_overflow 0
		.amdhsa_memory_ordered 1
		.amdhsa_forward_progress 1
		.amdhsa_inst_pref_size 32
		.amdhsa_round_robin_scheduling 0
		.amdhsa_exception_fp_ieee_invalid_op 0
		.amdhsa_exception_fp_denorm_src 0
		.amdhsa_exception_fp_ieee_div_zero 0
		.amdhsa_exception_fp_ieee_overflow 0
		.amdhsa_exception_fp_ieee_underflow 0
		.amdhsa_exception_fp_ieee_inexact 0
		.amdhsa_exception_int_div_zero 0
	.end_amdhsa_kernel
	.section	.text._ZN6thrust23THRUST_200600_302600_NS11hip_rocprim14__parallel_for6kernelILj256EZNS1_16__set_operations9doit_stepILb0ENS0_6detail15normal_iteratorINS0_10device_ptrIKiEEEESB_PiSC_lNS7_INS8_IiEEEESC_NS0_4lessIiEENS4_23serial_set_intersectionEEE10hipError_tPvRmT0_T1_T2_T3_T4_SP_T5_T6_PSP_T7_T8_P12ihipStream_tbEUllE_jLj1EEEvSL_SM_SM_,"axG",@progbits,_ZN6thrust23THRUST_200600_302600_NS11hip_rocprim14__parallel_for6kernelILj256EZNS1_16__set_operations9doit_stepILb0ENS0_6detail15normal_iteratorINS0_10device_ptrIKiEEEESB_PiSC_lNS7_INS8_IiEEEESC_NS0_4lessIiEENS4_23serial_set_intersectionEEE10hipError_tPvRmT0_T1_T2_T3_T4_SP_T5_T6_PSP_T7_T8_P12ihipStream_tbEUllE_jLj1EEEvSL_SM_SM_,comdat
.Lfunc_end22:
	.size	_ZN6thrust23THRUST_200600_302600_NS11hip_rocprim14__parallel_for6kernelILj256EZNS1_16__set_operations9doit_stepILb0ENS0_6detail15normal_iteratorINS0_10device_ptrIKiEEEESB_PiSC_lNS7_INS8_IiEEEESC_NS0_4lessIiEENS4_23serial_set_intersectionEEE10hipError_tPvRmT0_T1_T2_T3_T4_SP_T5_T6_PSP_T7_T8_P12ihipStream_tbEUllE_jLj1EEEvSL_SM_SM_, .Lfunc_end22-_ZN6thrust23THRUST_200600_302600_NS11hip_rocprim14__parallel_for6kernelILj256EZNS1_16__set_operations9doit_stepILb0ENS0_6detail15normal_iteratorINS0_10device_ptrIKiEEEESB_PiSC_lNS7_INS8_IiEEEESC_NS0_4lessIiEENS4_23serial_set_intersectionEEE10hipError_tPvRmT0_T1_T2_T3_T4_SP_T5_T6_PSP_T7_T8_P12ihipStream_tbEUllE_jLj1EEEvSL_SM_SM_
                                        ; -- End function
	.set _ZN6thrust23THRUST_200600_302600_NS11hip_rocprim14__parallel_for6kernelILj256EZNS1_16__set_operations9doit_stepILb0ENS0_6detail15normal_iteratorINS0_10device_ptrIKiEEEESB_PiSC_lNS7_INS8_IiEEEESC_NS0_4lessIiEENS4_23serial_set_intersectionEEE10hipError_tPvRmT0_T1_T2_T3_T4_SP_T5_T6_PSP_T7_T8_P12ihipStream_tbEUllE_jLj1EEEvSL_SM_SM_.num_vgpr, 25
	.set _ZN6thrust23THRUST_200600_302600_NS11hip_rocprim14__parallel_for6kernelILj256EZNS1_16__set_operations9doit_stepILb0ENS0_6detail15normal_iteratorINS0_10device_ptrIKiEEEESB_PiSC_lNS7_INS8_IiEEEESC_NS0_4lessIiEENS4_23serial_set_intersectionEEE10hipError_tPvRmT0_T1_T2_T3_T4_SP_T5_T6_PSP_T7_T8_P12ihipStream_tbEUllE_jLj1EEEvSL_SM_SM_.num_agpr, 0
	.set _ZN6thrust23THRUST_200600_302600_NS11hip_rocprim14__parallel_for6kernelILj256EZNS1_16__set_operations9doit_stepILb0ENS0_6detail15normal_iteratorINS0_10device_ptrIKiEEEESB_PiSC_lNS7_INS8_IiEEEESC_NS0_4lessIiEENS4_23serial_set_intersectionEEE10hipError_tPvRmT0_T1_T2_T3_T4_SP_T5_T6_PSP_T7_T8_P12ihipStream_tbEUllE_jLj1EEEvSL_SM_SM_.numbered_sgpr, 16
	.set _ZN6thrust23THRUST_200600_302600_NS11hip_rocprim14__parallel_for6kernelILj256EZNS1_16__set_operations9doit_stepILb0ENS0_6detail15normal_iteratorINS0_10device_ptrIKiEEEESB_PiSC_lNS7_INS8_IiEEEESC_NS0_4lessIiEENS4_23serial_set_intersectionEEE10hipError_tPvRmT0_T1_T2_T3_T4_SP_T5_T6_PSP_T7_T8_P12ihipStream_tbEUllE_jLj1EEEvSL_SM_SM_.num_named_barrier, 0
	.set _ZN6thrust23THRUST_200600_302600_NS11hip_rocprim14__parallel_for6kernelILj256EZNS1_16__set_operations9doit_stepILb0ENS0_6detail15normal_iteratorINS0_10device_ptrIKiEEEESB_PiSC_lNS7_INS8_IiEEEESC_NS0_4lessIiEENS4_23serial_set_intersectionEEE10hipError_tPvRmT0_T1_T2_T3_T4_SP_T5_T6_PSP_T7_T8_P12ihipStream_tbEUllE_jLj1EEEvSL_SM_SM_.private_seg_size, 0
	.set _ZN6thrust23THRUST_200600_302600_NS11hip_rocprim14__parallel_for6kernelILj256EZNS1_16__set_operations9doit_stepILb0ENS0_6detail15normal_iteratorINS0_10device_ptrIKiEEEESB_PiSC_lNS7_INS8_IiEEEESC_NS0_4lessIiEENS4_23serial_set_intersectionEEE10hipError_tPvRmT0_T1_T2_T3_T4_SP_T5_T6_PSP_T7_T8_P12ihipStream_tbEUllE_jLj1EEEvSL_SM_SM_.uses_vcc, 1
	.set _ZN6thrust23THRUST_200600_302600_NS11hip_rocprim14__parallel_for6kernelILj256EZNS1_16__set_operations9doit_stepILb0ENS0_6detail15normal_iteratorINS0_10device_ptrIKiEEEESB_PiSC_lNS7_INS8_IiEEEESC_NS0_4lessIiEENS4_23serial_set_intersectionEEE10hipError_tPvRmT0_T1_T2_T3_T4_SP_T5_T6_PSP_T7_T8_P12ihipStream_tbEUllE_jLj1EEEvSL_SM_SM_.uses_flat_scratch, 0
	.set _ZN6thrust23THRUST_200600_302600_NS11hip_rocprim14__parallel_for6kernelILj256EZNS1_16__set_operations9doit_stepILb0ENS0_6detail15normal_iteratorINS0_10device_ptrIKiEEEESB_PiSC_lNS7_INS8_IiEEEESC_NS0_4lessIiEENS4_23serial_set_intersectionEEE10hipError_tPvRmT0_T1_T2_T3_T4_SP_T5_T6_PSP_T7_T8_P12ihipStream_tbEUllE_jLj1EEEvSL_SM_SM_.has_dyn_sized_stack, 0
	.set _ZN6thrust23THRUST_200600_302600_NS11hip_rocprim14__parallel_for6kernelILj256EZNS1_16__set_operations9doit_stepILb0ENS0_6detail15normal_iteratorINS0_10device_ptrIKiEEEESB_PiSC_lNS7_INS8_IiEEEESC_NS0_4lessIiEENS4_23serial_set_intersectionEEE10hipError_tPvRmT0_T1_T2_T3_T4_SP_T5_T6_PSP_T7_T8_P12ihipStream_tbEUllE_jLj1EEEvSL_SM_SM_.has_recursion, 0
	.set _ZN6thrust23THRUST_200600_302600_NS11hip_rocprim14__parallel_for6kernelILj256EZNS1_16__set_operations9doit_stepILb0ENS0_6detail15normal_iteratorINS0_10device_ptrIKiEEEESB_PiSC_lNS7_INS8_IiEEEESC_NS0_4lessIiEENS4_23serial_set_intersectionEEE10hipError_tPvRmT0_T1_T2_T3_T4_SP_T5_T6_PSP_T7_T8_P12ihipStream_tbEUllE_jLj1EEEvSL_SM_SM_.has_indirect_call, 0
	.section	.AMDGPU.csdata,"",@progbits
; Kernel info:
; codeLenInByte = 3992
; TotalNumSgprs: 18
; NumVgprs: 25
; ScratchSize: 0
; MemoryBound: 0
; FloatMode: 240
; IeeeMode: 1
; LDSByteSize: 0 bytes/workgroup (compile time only)
; SGPRBlocks: 0
; VGPRBlocks: 1
; NumSGPRsForWavesPerEU: 18
; NumVGPRsForWavesPerEU: 25
; NamedBarCnt: 0
; Occupancy: 16
; WaveLimiterHint : 0
; COMPUTE_PGM_RSRC2:SCRATCH_EN: 0
; COMPUTE_PGM_RSRC2:USER_SGPR: 2
; COMPUTE_PGM_RSRC2:TRAP_HANDLER: 0
; COMPUTE_PGM_RSRC2:TGID_X_EN: 1
; COMPUTE_PGM_RSRC2:TGID_Y_EN: 0
; COMPUTE_PGM_RSRC2:TGID_Z_EN: 0
; COMPUTE_PGM_RSRC2:TIDIG_COMP_CNT: 0
	.section	.text._ZN6thrust23THRUST_200600_302600_NS11hip_rocprim16__set_operations22lookback_set_op_kernelIN7rocprim17ROCPRIM_400000_NS13kernel_configILj256ELj16ELj4294967295EEELb0ENS0_6detail15normal_iteratorINS0_10device_ptrIKiEEEESD_PiSE_lNS9_INSA_IiEEEESE_NS0_4lessIiEENS2_23serial_set_intersectionENS5_6detail19lookback_scan_stateIlLb0ELb1EEEEEvT1_T2_T3_T4_T6_T7_T8_T9_PNS0_4pairIT5_SW_EEPSW_T10_NSK_16ordered_block_idIjEE,"axG",@progbits,_ZN6thrust23THRUST_200600_302600_NS11hip_rocprim16__set_operations22lookback_set_op_kernelIN7rocprim17ROCPRIM_400000_NS13kernel_configILj256ELj16ELj4294967295EEELb0ENS0_6detail15normal_iteratorINS0_10device_ptrIKiEEEESD_PiSE_lNS9_INSA_IiEEEESE_NS0_4lessIiEENS2_23serial_set_intersectionENS5_6detail19lookback_scan_stateIlLb0ELb1EEEEEvT1_T2_T3_T4_T6_T7_T8_T9_PNS0_4pairIT5_SW_EEPSW_T10_NSK_16ordered_block_idIjEE,comdat
	.protected	_ZN6thrust23THRUST_200600_302600_NS11hip_rocprim16__set_operations22lookback_set_op_kernelIN7rocprim17ROCPRIM_400000_NS13kernel_configILj256ELj16ELj4294967295EEELb0ENS0_6detail15normal_iteratorINS0_10device_ptrIKiEEEESD_PiSE_lNS9_INSA_IiEEEESE_NS0_4lessIiEENS2_23serial_set_intersectionENS5_6detail19lookback_scan_stateIlLb0ELb1EEEEEvT1_T2_T3_T4_T6_T7_T8_T9_PNS0_4pairIT5_SW_EEPSW_T10_NSK_16ordered_block_idIjEE ; -- Begin function _ZN6thrust23THRUST_200600_302600_NS11hip_rocprim16__set_operations22lookback_set_op_kernelIN7rocprim17ROCPRIM_400000_NS13kernel_configILj256ELj16ELj4294967295EEELb0ENS0_6detail15normal_iteratorINS0_10device_ptrIKiEEEESD_PiSE_lNS9_INSA_IiEEEESE_NS0_4lessIiEENS2_23serial_set_intersectionENS5_6detail19lookback_scan_stateIlLb0ELb1EEEEEvT1_T2_T3_T4_T6_T7_T8_T9_PNS0_4pairIT5_SW_EEPSW_T10_NSK_16ordered_block_idIjEE
	.globl	_ZN6thrust23THRUST_200600_302600_NS11hip_rocprim16__set_operations22lookback_set_op_kernelIN7rocprim17ROCPRIM_400000_NS13kernel_configILj256ELj16ELj4294967295EEELb0ENS0_6detail15normal_iteratorINS0_10device_ptrIKiEEEESD_PiSE_lNS9_INSA_IiEEEESE_NS0_4lessIiEENS2_23serial_set_intersectionENS5_6detail19lookback_scan_stateIlLb0ELb1EEEEEvT1_T2_T3_T4_T6_T7_T8_T9_PNS0_4pairIT5_SW_EEPSW_T10_NSK_16ordered_block_idIjEE
	.p2align	8
	.type	_ZN6thrust23THRUST_200600_302600_NS11hip_rocprim16__set_operations22lookback_set_op_kernelIN7rocprim17ROCPRIM_400000_NS13kernel_configILj256ELj16ELj4294967295EEELb0ENS0_6detail15normal_iteratorINS0_10device_ptrIKiEEEESD_PiSE_lNS9_INSA_IiEEEESE_NS0_4lessIiEENS2_23serial_set_intersectionENS5_6detail19lookback_scan_stateIlLb0ELb1EEEEEvT1_T2_T3_T4_T6_T7_T8_T9_PNS0_4pairIT5_SW_EEPSW_T10_NSK_16ordered_block_idIjEE,@function
_ZN6thrust23THRUST_200600_302600_NS11hip_rocprim16__set_operations22lookback_set_op_kernelIN7rocprim17ROCPRIM_400000_NS13kernel_configILj256ELj16ELj4294967295EEELb0ENS0_6detail15normal_iteratorINS0_10device_ptrIKiEEEESD_PiSE_lNS9_INSA_IiEEEESE_NS0_4lessIiEENS2_23serial_set_intersectionENS5_6detail19lookback_scan_stateIlLb0ELb1EEEEEvT1_T2_T3_T4_T6_T7_T8_T9_PNS0_4pairIT5_SW_EEPSW_T10_NSK_16ordered_block_idIjEE: ; @_ZN6thrust23THRUST_200600_302600_NS11hip_rocprim16__set_operations22lookback_set_op_kernelIN7rocprim17ROCPRIM_400000_NS13kernel_configILj256ELj16ELj4294967295EEELb0ENS0_6detail15normal_iteratorINS0_10device_ptrIKiEEEESD_PiSE_lNS9_INSA_IiEEEESE_NS0_4lessIiEENS2_23serial_set_intersectionENS5_6detail19lookback_scan_stateIlLb0ELb1EEEEEvT1_T2_T3_T4_T6_T7_T8_T9_PNS0_4pairIT5_SW_EEPSW_T10_NSK_16ordered_block_idIjEE
; %bb.0:
	s_clause 0x1
	s_load_b32 s3, s[0:1], 0x64
	s_load_b32 s2, s[0:1], 0x58
	v_bfe_u32 v1, v0, 10, 10
	v_bfe_u32 v2, v0, 20, 10
	s_load_b256 s[24:31], s[0:1], 0x38
	v_and_b32_e32 v16, 0x3ff, v0
	s_delay_alu instid0(VALU_DEP_1) | instskip(SKIP_4) | instid1(VALU_DEP_1)
	v_sub_nc_u32_e32 v0, 0, v16
	s_wait_kmcnt 0x0
	s_lshr_b32 s4, s3, 16
	s_and_b32 s3, s3, 0xffff
	v_mad_u32_u24 v1, v2, s4, v1
	v_mul_lo_u32 v1, v1, s3
	s_mov_b32 s3, exec_lo
	s_delay_alu instid0(VALU_DEP_1)
	v_cmpx_eq_u32_e64 v1, v0
	s_cbranch_execz .LBB23_4
; %bb.1:
	s_mov_b32 s5, exec_lo
	s_mov_b32 s4, exec_lo
	v_mbcnt_lo_u32_b32 v0, s5, 0
                                        ; implicit-def: $vgpr1
	s_delay_alu instid0(VALU_DEP_1)
	v_cmpx_eq_u32_e32 0, v0
	s_cbranch_execz .LBB23_3
; %bb.2:
	s_bcnt1_i32_b32 s5, s5
	s_delay_alu instid0(SALU_CYCLE_1)
	v_dual_mov_b32 v1, 0 :: v_dual_mov_b32 v2, s5
	global_atomic_add_u32 v1, v1, v2, s[30:31] th:TH_ATOMIC_RETURN scope:SCOPE_DEV
.LBB23_3:
	s_wait_xcnt 0x0
	s_or_b32 exec_lo, exec_lo, s4
	s_wait_loadcnt 0x0
	v_readfirstlane_b32 s4, v1
	s_delay_alu instid0(VALU_DEP_1)
	v_dual_mov_b32 v1, 0 :: v_dual_add_nc_u32 v0, s4, v0
	ds_store_b32 v1, v0 offset:36864
.LBB23_4:
	s_or_b32 exec_lo, exec_lo, s3
	v_mov_b32_e32 v0, 0
	s_wait_dscnt 0x0
	s_barrier_signal -1
	s_barrier_wait -1
	ds_load_b32 v1, v0 offset:36864
	s_load_b128 s[4:7], s[0:1], 0x0
	s_add_co_i32 s2, s2, -1
	s_wait_dscnt 0x0
	s_clause 0x1
	global_load_b128 v[2:5], v1, s[24:25] scale_offset
	global_load_b128 v[6:9], v1, s[24:25] offset:16 scale_offset
	s_wait_xcnt 0x0
	s_load_b64 s[24:25], s[0:1], 0x20
	v_cmp_le_i32_e32 vcc_lo, s2, v1
	v_readfirstlane_b32 s23, v1
	s_wait_xcnt 0x0
	s_mov_b32 s0, -1
	s_and_b32 vcc_lo, exec_lo, vcc_lo
	s_wait_loadcnt 0x1
	v_readfirstlane_b32 s3, v2
	v_lshlrev_b64_e32 v[10:11], 2, v[4:5]
	s_wait_loadcnt 0x0
	v_readfirstlane_b32 s1, v6
	s_delay_alu instid0(VALU_DEP_3) | instskip(SKIP_3) | instid1(VALU_DEP_2)
	v_dual_sub_nc_u32 v26, v8, v4 :: v_dual_mov_b32 v2, s3
	s_sub_co_i32 s30, s1, s3
	s_wait_kmcnt 0x0
	v_add_nc_u64_e32 v[18:19], s[6:7], v[10:11]
	v_lshlrev_b64_e32 v[2:3], 2, v[2:3]
	s_delay_alu instid0(VALU_DEP_1)
	v_add_nc_u64_e32 v[20:21], s[4:5], v[2:3]
	s_cbranch_vccz .LBB23_255
; %bb.5:
	v_dual_mov_b32 v1, v0 :: v_dual_add_nc_u32 v22, s30, v26
	v_dual_mov_b32 v2, v0 :: v_dual_mov_b32 v3, v0
	v_dual_mov_b32 v4, v0 :: v_dual_mov_b32 v5, v0
	;; [unrolled: 1-line block ×7, first 2 shown]
	s_mov_b32 s0, exec_lo
	v_cmpx_lt_i32_e64 v16, v22
	s_cbranch_execz .LBB23_7
; %bb.6:
	v_dual_mov_b32 v1, 0 :: v_dual_lshlrev_b32 v0, 2, v16
	v_cmp_gt_i32_e32 vcc_lo, s30, v16
	s_delay_alu instid0(VALU_DEP_2) | instskip(SKIP_3) | instid1(VALU_DEP_3)
	v_add_nc_u64_e32 v[2:3], v[20:21], v[0:1]
	v_subrev_nc_u32_e32 v0, s30, v16
	v_dual_mov_b32 v6, v1 :: v_dual_mov_b32 v7, v1
	v_dual_mov_b32 v8, v1 :: v_dual_mov_b32 v9, v1
	v_lshl_add_u64 v[4:5], v[0:1], 2, v[18:19]
	v_dual_mov_b32 v10, v1 :: v_dual_mov_b32 v11, v1
	v_dual_mov_b32 v12, v1 :: v_dual_mov_b32 v13, v1
	s_delay_alu instid0(VALU_DEP_3)
	v_dual_cndmask_b32 v3, v5, v3 :: v_dual_cndmask_b32 v2, v4, v2
	v_dual_mov_b32 v4, v1 :: v_dual_mov_b32 v5, v1
	v_dual_mov_b32 v14, v1 :: v_dual_mov_b32 v15, v1
	global_load_b32 v0, v[2:3], off
	s_wait_xcnt 0x0
	v_dual_mov_b32 v2, v1 :: v_dual_mov_b32 v3, v1
.LBB23_7:
	s_or_b32 exec_lo, exec_lo, s0
	v_add_nc_u32_e32 v17, 0x100, v16
	s_mov_b32 s0, exec_lo
	s_delay_alu instid0(VALU_DEP_1)
	v_cmpx_lt_i32_e64 v17, v22
	s_cbranch_execz .LBB23_9
; %bb.8:
	v_dual_mov_b32 v25, 0 :: v_dual_lshlrev_b32 v24, 2, v16
	v_cmp_gt_i32_e32 vcc_lo, s30, v17
	s_delay_alu instid0(VALU_DEP_2) | instskip(SKIP_1) | instid1(VALU_DEP_1)
	v_add_nc_u64_e32 v[28:29], v[20:21], v[24:25]
	v_subrev_nc_u32_e32 v24, s30, v17
	v_lshl_add_u64 v[24:25], v[24:25], 2, v[18:19]
	s_delay_alu instid0(VALU_DEP_3) | instskip(NEXT) | instid1(VALU_DEP_1)
	v_add_nc_u64_e32 v[28:29], 0x400, v[28:29]
	v_dual_cndmask_b32 v25, v25, v29 :: v_dual_cndmask_b32 v24, v24, v28
	global_load_b32 v1, v[24:25], off
.LBB23_9:
	s_wait_xcnt 0x0
	s_or_b32 exec_lo, exec_lo, s0
	v_add_nc_u32_e32 v23, 0x200, v16
	s_mov_b32 s0, exec_lo
	s_delay_alu instid0(VALU_DEP_1)
	v_cmpx_lt_i32_e64 v23, v22
	s_cbranch_execz .LBB23_11
; %bb.10:
	v_dual_mov_b32 v25, 0 :: v_dual_lshlrev_b32 v24, 2, v16
	v_cmp_gt_i32_e32 vcc_lo, s30, v23
	s_delay_alu instid0(VALU_DEP_2) | instskip(SKIP_1) | instid1(VALU_DEP_1)
	v_add_nc_u64_e32 v[28:29], v[20:21], v[24:25]
	v_subrev_nc_u32_e32 v24, s30, v23
	v_lshl_add_u64 v[24:25], v[24:25], 2, v[18:19]
	s_delay_alu instid0(VALU_DEP_3) | instskip(NEXT) | instid1(VALU_DEP_1)
	v_add_nc_u64_e32 v[28:29], 0x800, v[28:29]
	v_dual_cndmask_b32 v25, v25, v29 :: v_dual_cndmask_b32 v24, v24, v28
	global_load_b32 v2, v[24:25], off
.LBB23_11:
	s_wait_xcnt 0x0
	;; [unrolled: 19-line block ×3, first 2 shown]
	s_or_b32 exec_lo, exec_lo, s0
	v_or_b32_e32 v23, 0x400, v16
	s_mov_b32 s0, exec_lo
	s_delay_alu instid0(VALU_DEP_1)
	v_cmpx_lt_i32_e64 v23, v22
	s_cbranch_execz .LBB23_15
; %bb.14:
	v_dual_mov_b32 v25, 0 :: v_dual_lshlrev_b32 v24, 2, v16
	v_cmp_gt_i32_e32 vcc_lo, s30, v23
	s_delay_alu instid0(VALU_DEP_2) | instskip(SKIP_1) | instid1(VALU_DEP_1)
	v_add_nc_u64_e32 v[28:29], v[20:21], v[24:25]
	v_subrev_nc_u32_e32 v24, s30, v23
	v_lshl_add_u64 v[24:25], v[24:25], 2, v[18:19]
	s_delay_alu instid0(VALU_DEP_3) | instskip(NEXT) | instid1(VALU_DEP_1)
	v_add_nc_u64_e32 v[28:29], 0x1000, v[28:29]
	v_dual_cndmask_b32 v25, v25, v29 :: v_dual_cndmask_b32 v24, v24, v28
	global_load_b32 v4, v[24:25], off
.LBB23_15:
	s_wait_xcnt 0x0
	s_or_b32 exec_lo, exec_lo, s0
	v_add_nc_u32_e32 v23, 0x500, v16
	s_mov_b32 s0, exec_lo
	s_delay_alu instid0(VALU_DEP_1)
	v_cmpx_lt_i32_e64 v23, v22
	s_cbranch_execz .LBB23_17
; %bb.16:
	v_dual_mov_b32 v25, 0 :: v_dual_lshlrev_b32 v24, 2, v16
	v_cmp_gt_i32_e32 vcc_lo, s30, v23
	s_delay_alu instid0(VALU_DEP_2) | instskip(SKIP_1) | instid1(VALU_DEP_1)
	v_add_nc_u64_e32 v[28:29], v[20:21], v[24:25]
	v_subrev_nc_u32_e32 v24, s30, v23
	v_lshl_add_u64 v[24:25], v[24:25], 2, v[18:19]
	s_delay_alu instid0(VALU_DEP_3) | instskip(NEXT) | instid1(VALU_DEP_1)
	v_add_nc_u64_e32 v[28:29], 0x1400, v[28:29]
	v_dual_cndmask_b32 v25, v25, v29 :: v_dual_cndmask_b32 v24, v24, v28
	global_load_b32 v5, v[24:25], off
.LBB23_17:
	s_wait_xcnt 0x0
	s_or_b32 exec_lo, exec_lo, s0
	v_add_nc_u32_e32 v23, 0x600, v16
	;; [unrolled: 19-line block ×3, first 2 shown]
	s_mov_b32 s0, exec_lo
	s_delay_alu instid0(VALU_DEP_1)
	v_cmpx_lt_i32_e64 v23, v22
	s_cbranch_execz .LBB23_21
; %bb.20:
	v_dual_mov_b32 v25, 0 :: v_dual_lshlrev_b32 v24, 2, v16
	v_cmp_gt_i32_e32 vcc_lo, s30, v23
	s_delay_alu instid0(VALU_DEP_2) | instskip(SKIP_1) | instid1(VALU_DEP_1)
	v_add_nc_u64_e32 v[28:29], v[20:21], v[24:25]
	v_subrev_nc_u32_e32 v24, s30, v23
	v_lshl_add_u64 v[24:25], v[24:25], 2, v[18:19]
	s_delay_alu instid0(VALU_DEP_3) | instskip(NEXT) | instid1(VALU_DEP_1)
	v_add_nc_u64_e32 v[28:29], 0x1c00, v[28:29]
	v_dual_cndmask_b32 v25, v25, v29 :: v_dual_cndmask_b32 v24, v24, v28
	global_load_b32 v7, v[24:25], off
.LBB23_21:
	s_wait_xcnt 0x0
	s_or_b32 exec_lo, exec_lo, s0
	v_or_b32_e32 v23, 0x800, v16
	s_mov_b32 s0, exec_lo
	s_delay_alu instid0(VALU_DEP_1)
	v_cmpx_lt_i32_e64 v23, v22
	s_cbranch_execz .LBB23_23
; %bb.22:
	v_dual_mov_b32 v25, 0 :: v_dual_lshlrev_b32 v24, 2, v16
	v_cmp_gt_i32_e32 vcc_lo, s30, v23
	s_delay_alu instid0(VALU_DEP_2) | instskip(SKIP_1) | instid1(VALU_DEP_1)
	v_add_nc_u64_e32 v[28:29], v[20:21], v[24:25]
	v_subrev_nc_u32_e32 v24, s30, v23
	v_lshl_add_u64 v[24:25], v[24:25], 2, v[18:19]
	s_delay_alu instid0(VALU_DEP_3) | instskip(NEXT) | instid1(VALU_DEP_1)
	v_add_nc_u64_e32 v[28:29], 0x2000, v[28:29]
	v_dual_cndmask_b32 v25, v25, v29 :: v_dual_cndmask_b32 v24, v24, v28
	global_load_b32 v8, v[24:25], off
.LBB23_23:
	s_wait_xcnt 0x0
	s_or_b32 exec_lo, exec_lo, s0
	v_add_nc_u32_e32 v23, 0x900, v16
	s_mov_b32 s0, exec_lo
	s_delay_alu instid0(VALU_DEP_1)
	v_cmpx_lt_i32_e64 v23, v22
	s_cbranch_execz .LBB23_25
; %bb.24:
	v_dual_mov_b32 v25, 0 :: v_dual_lshlrev_b32 v24, 2, v16
	v_cmp_gt_i32_e32 vcc_lo, s30, v23
	s_delay_alu instid0(VALU_DEP_2) | instskip(SKIP_1) | instid1(VALU_DEP_1)
	v_add_nc_u64_e32 v[28:29], v[20:21], v[24:25]
	v_subrev_nc_u32_e32 v24, s30, v23
	v_lshl_add_u64 v[24:25], v[24:25], 2, v[18:19]
	s_delay_alu instid0(VALU_DEP_3) | instskip(NEXT) | instid1(VALU_DEP_1)
	v_add_nc_u64_e32 v[28:29], 0x2400, v[28:29]
	v_dual_cndmask_b32 v25, v25, v29 :: v_dual_cndmask_b32 v24, v24, v28
	global_load_b32 v9, v[24:25], off
.LBB23_25:
	s_wait_xcnt 0x0
	s_or_b32 exec_lo, exec_lo, s0
	v_add_nc_u32_e32 v23, 0xa00, v16
	;; [unrolled: 19-line block ×3, first 2 shown]
	s_mov_b32 s0, exec_lo
	s_delay_alu instid0(VALU_DEP_1)
	v_cmpx_lt_i32_e64 v23, v22
	s_cbranch_execz .LBB23_29
; %bb.28:
	v_dual_mov_b32 v25, 0 :: v_dual_lshlrev_b32 v24, 2, v16
	v_cmp_gt_i32_e32 vcc_lo, s30, v23
	s_delay_alu instid0(VALU_DEP_2) | instskip(SKIP_1) | instid1(VALU_DEP_1)
	v_add_nc_u64_e32 v[28:29], v[20:21], v[24:25]
	v_subrev_nc_u32_e32 v24, s30, v23
	v_lshl_add_u64 v[24:25], v[24:25], 2, v[18:19]
	s_delay_alu instid0(VALU_DEP_3) | instskip(NEXT) | instid1(VALU_DEP_1)
	v_add_nc_u64_e32 v[28:29], 0x2c00, v[28:29]
	v_dual_cndmask_b32 v25, v25, v29 :: v_dual_cndmask_b32 v24, v24, v28
	global_load_b32 v11, v[24:25], off
.LBB23_29:
	s_wait_xcnt 0x0
	s_or_b32 exec_lo, exec_lo, s0
	v_or_b32_e32 v23, 0xc00, v16
	s_mov_b32 s0, exec_lo
	s_delay_alu instid0(VALU_DEP_1)
	v_cmpx_lt_i32_e64 v23, v22
	s_cbranch_execz .LBB23_31
; %bb.30:
	v_dual_mov_b32 v25, 0 :: v_dual_lshlrev_b32 v24, 2, v16
	v_cmp_gt_i32_e32 vcc_lo, s30, v23
	s_delay_alu instid0(VALU_DEP_2) | instskip(SKIP_1) | instid1(VALU_DEP_1)
	v_add_nc_u64_e32 v[28:29], v[20:21], v[24:25]
	v_subrev_nc_u32_e32 v24, s30, v23
	v_lshl_add_u64 v[24:25], v[24:25], 2, v[18:19]
	s_delay_alu instid0(VALU_DEP_3) | instskip(NEXT) | instid1(VALU_DEP_1)
	v_add_nc_u64_e32 v[28:29], 0x3000, v[28:29]
	v_dual_cndmask_b32 v25, v25, v29 :: v_dual_cndmask_b32 v24, v24, v28
	global_load_b32 v12, v[24:25], off
.LBB23_31:
	s_wait_xcnt 0x0
	s_or_b32 exec_lo, exec_lo, s0
	v_add_nc_u32_e32 v23, 0xd00, v16
	s_mov_b32 s0, exec_lo
	s_delay_alu instid0(VALU_DEP_1)
	v_cmpx_lt_i32_e64 v23, v22
	s_cbranch_execz .LBB23_33
; %bb.32:
	v_dual_mov_b32 v25, 0 :: v_dual_lshlrev_b32 v24, 2, v16
	v_cmp_gt_i32_e32 vcc_lo, s30, v23
	s_delay_alu instid0(VALU_DEP_2) | instskip(SKIP_1) | instid1(VALU_DEP_1)
	v_add_nc_u64_e32 v[28:29], v[20:21], v[24:25]
	v_subrev_nc_u32_e32 v24, s30, v23
	v_lshl_add_u64 v[24:25], v[24:25], 2, v[18:19]
	s_delay_alu instid0(VALU_DEP_3) | instskip(NEXT) | instid1(VALU_DEP_1)
	v_add_nc_u64_e32 v[28:29], 0x3400, v[28:29]
	v_dual_cndmask_b32 v25, v25, v29 :: v_dual_cndmask_b32 v24, v24, v28
	global_load_b32 v13, v[24:25], off
.LBB23_33:
	s_wait_xcnt 0x0
	s_or_b32 exec_lo, exec_lo, s0
	v_add_nc_u32_e32 v23, 0xe00, v16
	;; [unrolled: 19-line block ×3, first 2 shown]
	s_mov_b32 s0, exec_lo
	s_delay_alu instid0(VALU_DEP_1)
	v_cmpx_lt_i32_e64 v23, v22
	s_cbranch_execz .LBB23_37
; %bb.36:
	v_dual_mov_b32 v25, 0 :: v_dual_lshlrev_b32 v24, 2, v16
	v_cmp_gt_i32_e32 vcc_lo, s30, v23
	s_delay_alu instid0(VALU_DEP_2) | instskip(SKIP_1) | instid1(VALU_DEP_1)
	v_add_nc_u64_e32 v[28:29], v[20:21], v[24:25]
	v_subrev_nc_u32_e32 v24, s30, v23
	v_lshl_add_u64 v[24:25], v[24:25], 2, v[18:19]
	s_delay_alu instid0(VALU_DEP_3) | instskip(NEXT) | instid1(VALU_DEP_1)
	v_add_nc_u64_e32 v[28:29], 0x3c00, v[28:29]
	v_dual_cndmask_b32 v25, v25, v29 :: v_dual_cndmask_b32 v24, v24, v28
	global_load_b32 v15, v[24:25], off
.LBB23_37:
	s_wait_xcnt 0x0
	s_or_b32 exec_lo, exec_lo, s0
	v_lshlrev_b32_e32 v27, 2, v16
	s_lshl_b32 s0, s30, 2
	s_mov_b32 s2, 0
	s_addk_co_i32 s0, 0x4800
	s_mov_b32 s1, exec_lo
	s_wait_loadcnt 0x0
	ds_store_2addr_stride64_b32 v27, v2, v3 offset0:84 offset1:88
	ds_store_2addr_stride64_b32 v27, v4, v5 offset0:92 offset1:96
	;; [unrolled: 1-line block ×6, first 2 shown]
	v_lshlrev_b32_e32 v0, 4, v16
	ds_store_2addr_stride64_b32 v27, v12, v13 offset0:124 offset1:128
	ds_store_2addr_stride64_b32 v27, v14, v15 offset0:132 offset1:136
	s_wait_dscnt 0x0
	s_barrier_signal -1
	v_min_i32_e32 v1, v22, v0
	s_barrier_wait -1
	s_delay_alu instid0(VALU_DEP_1) | instskip(NEXT) | instid1(VALU_DEP_1)
	v_dual_sub_nc_u32 v0, v1, v26 :: v_dual_min_i32 v2, s30, v1
	v_max_i32_e32 v0, 0, v0
	s_delay_alu instid0(VALU_DEP_1)
	v_cmpx_lt_i32_e64 v0, v2
	s_cbranch_execz .LBB23_41
; %bb.38:
	v_lshlrev_b32_e32 v3, 2, v1
	s_delay_alu instid0(VALU_DEP_1)
	v_add3_u32 v3, s0, v3, 0x400
.LBB23_39:                              ; =>This Inner Loop Header: Depth=1
	v_add_nc_u32_e32 v4, v2, v0
	s_delay_alu instid0(VALU_DEP_1) | instskip(NEXT) | instid1(VALU_DEP_1)
	v_lshrrev_b32_e32 v4, 1, v4
	v_not_b32_e32 v5, v4
	v_dual_lshlrev_b32 v6, 2, v4 :: v_dual_add_nc_u32 v7, 1, v4
	s_delay_alu instid0(VALU_DEP_2)
	v_lshl_add_u32 v5, v5, 2, v3
	ds_load_b32 v6, v6 offset:19456
	ds_load_b32 v5, v5
	s_wait_dscnt 0x0
	v_cmp_lt_i32_e32 vcc_lo, v5, v6
	v_cndmask_b32_e32 v2, v2, v4, vcc_lo
	v_cndmask_b32_e32 v0, v7, v0, vcc_lo
	s_delay_alu instid0(VALU_DEP_1) | instskip(SKIP_1) | instid1(SALU_CYCLE_1)
	v_cmp_ge_i32_e32 vcc_lo, v0, v2
	s_or_b32 s2, vcc_lo, s2
	s_and_not1_b32 exec_lo, exec_lo, s2
	s_cbranch_execnz .LBB23_39
; %bb.40:
	s_or_b32 exec_lo, exec_lo, s2
.LBB23_41:
	s_delay_alu instid0(SALU_CYCLE_1) | instskip(SKIP_3) | instid1(VALU_DEP_1)
	s_or_b32 exec_lo, exec_lo, s1
	v_dual_mov_b32 v3, 0 :: v_dual_add_nc_u32 v28, 0x4800, v27
	v_sub_nc_u32_e32 v5, v1, v0
	s_mov_b32 s1, exec_lo
	v_cmpx_lt_i32_e64 v5, v26
	s_cbranch_execz .LBB23_71
; %bb.42:
	v_lshl_add_u32 v3, v5, 2, s0
	v_dual_mov_b32 v2, 0 :: v_dual_mov_b32 v6, 0
	s_mov_b32 s2, exec_lo
	ds_load_b32 v4, v3 offset:1024
	v_cmpx_lt_i32_e32 0, v0
	s_cbranch_execnz .LBB23_47
; %bb.43:
	s_or_b32 exec_lo, exec_lo, s2
	s_delay_alu instid0(SALU_CYCLE_1)
	s_mov_b32 s2, exec_lo
	v_cmpx_lt_i32_e64 v2, v6
	s_cbranch_execnz .LBB23_48
.LBB23_44:
	s_or_b32 exec_lo, exec_lo, s2
	s_delay_alu instid0(SALU_CYCLE_1)
	s_mov_b32 s2, exec_lo
	v_cmpx_lt_i32_e64 v2, v6
	s_cbranch_execnz .LBB23_49
.LBB23_45:
	s_or_b32 exec_lo, exec_lo, s2
	s_delay_alu instid0(SALU_CYCLE_1)
	s_mov_b32 s2, exec_lo
	v_cmpx_lt_i32_e64 v2, v6
	s_cbranch_execnz .LBB23_50
.LBB23_46:
	s_or_b32 exec_lo, exec_lo, s2
	s_delay_alu instid0(SALU_CYCLE_1)
	s_mov_b32 s2, exec_lo
	v_cmpx_lt_i32_e64 v2, v6
	s_cbranch_execnz .LBB23_51
	s_branch .LBB23_54
.LBB23_47:
	v_mul_lo_u32 v2, 0x1ff, v0
	s_delay_alu instid0(VALU_DEP_1) | instskip(NEXT) | instid1(VALU_DEP_1)
	v_ashrrev_i32_e32 v6, 9, v2
	v_dual_lshlrev_b32 v2, 2, v6 :: v_dual_add_nc_u32 v7, 1, v6
	ds_load_b32 v2, v2 offset:19456
	s_wait_dscnt 0x0
	v_cmp_lt_i32_e32 vcc_lo, v2, v4
	v_dual_cndmask_b32 v2, 0, v7, vcc_lo :: v_dual_cndmask_b32 v6, v6, v0, vcc_lo
	s_or_b32 exec_lo, exec_lo, s2
	s_delay_alu instid0(SALU_CYCLE_1) | instskip(NEXT) | instid1(VALU_DEP_1)
	s_mov_b32 s2, exec_lo
	v_cmpx_lt_i32_e64 v2, v6
	s_cbranch_execz .LBB23_44
.LBB23_48:
	v_sub_nc_u32_e32 v7, v2, v6
	s_delay_alu instid0(VALU_DEP_1) | instskip(NEXT) | instid1(VALU_DEP_1)
	v_lshl_add_u32 v7, v6, 7, v7
	v_ashrrev_i32_e32 v7, 7, v7
	s_delay_alu instid0(VALU_DEP_1)
	v_dual_lshlrev_b32 v8, 2, v7 :: v_dual_add_nc_u32 v9, 1, v7
	ds_load_b32 v8, v8 offset:19456
	s_wait_dscnt 0x0
	v_cmp_lt_i32_e32 vcc_lo, v8, v4
	v_dual_cndmask_b32 v2, v2, v9, vcc_lo :: v_dual_cndmask_b32 v6, v7, v6, vcc_lo
	s_or_b32 exec_lo, exec_lo, s2
	s_delay_alu instid0(SALU_CYCLE_1) | instskip(NEXT) | instid1(VALU_DEP_1)
	s_mov_b32 s2, exec_lo
	v_cmpx_lt_i32_e64 v2, v6
	s_cbranch_execz .LBB23_45
.LBB23_49:
	v_sub_nc_u32_e32 v7, v2, v6
	s_delay_alu instid0(VALU_DEP_1) | instskip(NEXT) | instid1(VALU_DEP_1)
	v_lshl_add_u32 v7, v6, 5, v7
	v_ashrrev_i32_e32 v7, 5, v7
	s_delay_alu instid0(VALU_DEP_1)
	v_dual_lshlrev_b32 v8, 2, v7 :: v_dual_add_nc_u32 v9, 1, v7
	ds_load_b32 v8, v8 offset:19456
	s_wait_dscnt 0x0
	v_cmp_lt_i32_e32 vcc_lo, v8, v4
	v_dual_cndmask_b32 v2, v2, v9, vcc_lo :: v_dual_cndmask_b32 v6, v7, v6, vcc_lo
	s_or_b32 exec_lo, exec_lo, s2
	s_delay_alu instid0(SALU_CYCLE_1) | instskip(NEXT) | instid1(VALU_DEP_1)
	s_mov_b32 s2, exec_lo
	v_cmpx_lt_i32_e64 v2, v6
	s_cbranch_execz .LBB23_46
.LBB23_50:
	v_sub_nc_u32_e32 v7, v2, v6
	s_delay_alu instid0(VALU_DEP_1) | instskip(NEXT) | instid1(VALU_DEP_1)
	v_lshl_add_u32 v7, v6, 4, v7
	v_ashrrev_i32_e32 v7, 4, v7
	s_delay_alu instid0(VALU_DEP_1)
	v_dual_lshlrev_b32 v8, 2, v7 :: v_dual_add_nc_u32 v9, 1, v7
	ds_load_b32 v8, v8 offset:19456
	s_wait_dscnt 0x0
	v_cmp_lt_i32_e32 vcc_lo, v8, v4
	v_dual_cndmask_b32 v2, v2, v9, vcc_lo :: v_dual_cndmask_b32 v6, v7, v6, vcc_lo
	s_or_b32 exec_lo, exec_lo, s2
	s_delay_alu instid0(SALU_CYCLE_1) | instskip(NEXT) | instid1(VALU_DEP_1)
	s_mov_b32 s2, exec_lo
	v_cmpx_lt_i32_e64 v2, v6
	s_cbranch_execz .LBB23_54
.LBB23_51:
	s_mov_b32 s3, 0
.LBB23_52:                              ; =>This Inner Loop Header: Depth=1
	v_sub_nc_u32_e32 v7, v2, v6
	s_delay_alu instid0(VALU_DEP_1) | instskip(NEXT) | instid1(VALU_DEP_1)
	v_lshl_add_u32 v7, v6, 1, v7
	v_ashrrev_i32_e32 v7, 1, v7
	s_delay_alu instid0(VALU_DEP_1) | instskip(SKIP_4) | instid1(VALU_DEP_1)
	v_dual_lshlrev_b32 v8, 2, v7 :: v_dual_add_nc_u32 v9, 1, v7
	ds_load_b32 v8, v8 offset:19456
	s_wait_dscnt 0x0
	v_cmp_lt_i32_e32 vcc_lo, v8, v4
	v_dual_cndmask_b32 v2, v2, v9, vcc_lo :: v_dual_cndmask_b32 v6, v7, v6, vcc_lo
	v_cmp_ge_i32_e32 vcc_lo, v2, v6
	s_or_b32 s3, vcc_lo, s3
	s_delay_alu instid0(SALU_CYCLE_1)
	s_and_not1_b32 exec_lo, exec_lo, s3
	s_cbranch_execnz .LBB23_52
; %bb.53:
	s_or_b32 exec_lo, exec_lo, s3
.LBB23_54:
	s_delay_alu instid0(SALU_CYCLE_1)
	s_or_b32 exec_lo, exec_lo, s2
	v_dual_mov_b32 v6, 0 :: v_dual_mov_b32 v7, v5
	s_mov_b32 s2, exec_lo
	v_cmpx_lt_i32_e32 0, v5
	s_cbranch_execnz .LBB23_59
; %bb.55:
	s_or_b32 exec_lo, exec_lo, s2
	s_delay_alu instid0(SALU_CYCLE_1)
	s_mov_b32 s2, exec_lo
	v_cmpx_lt_i32_e64 v6, v7
	s_cbranch_execnz .LBB23_60
.LBB23_56:
	s_or_b32 exec_lo, exec_lo, s2
	s_delay_alu instid0(SALU_CYCLE_1)
	s_mov_b32 s2, exec_lo
	v_cmpx_lt_i32_e64 v6, v7
	s_cbranch_execnz .LBB23_61
.LBB23_57:
	s_or_b32 exec_lo, exec_lo, s2
	s_delay_alu instid0(SALU_CYCLE_1)
	s_mov_b32 s2, exec_lo
	v_cmpx_lt_i32_e64 v6, v7
	s_cbranch_execnz .LBB23_62
.LBB23_58:
	s_or_b32 exec_lo, exec_lo, s2
	s_delay_alu instid0(SALU_CYCLE_1)
	s_mov_b32 s2, exec_lo
	v_cmpx_lt_i32_e64 v6, v7
	s_cbranch_execnz .LBB23_63
	s_branch .LBB23_66
.LBB23_59:
	v_mul_lo_u32 v6, 0x1ff, v5
	s_delay_alu instid0(VALU_DEP_1) | instskip(NEXT) | instid1(VALU_DEP_1)
	v_lshrrev_b32_e32 v7, 9, v6
	v_lshl_add_u32 v6, v7, 2, s0
	ds_load_b32 v6, v6 offset:1024
	s_wait_dscnt 0x0
	v_cmp_lt_i32_e32 vcc_lo, v6, v4
	v_add_nc_u32_e32 v8, 1, v7
	s_delay_alu instid0(VALU_DEP_1) | instskip(SKIP_1) | instid1(SALU_CYCLE_1)
	v_dual_cndmask_b32 v6, 0, v8 :: v_dual_cndmask_b32 v7, v7, v5
	s_or_b32 exec_lo, exec_lo, s2
	s_mov_b32 s2, exec_lo
	s_delay_alu instid0(VALU_DEP_1)
	v_cmpx_lt_i32_e64 v6, v7
	s_cbranch_execz .LBB23_56
.LBB23_60:
	v_sub_nc_u32_e32 v8, v6, v7
	s_delay_alu instid0(VALU_DEP_1) | instskip(NEXT) | instid1(VALU_DEP_1)
	v_lshl_add_u32 v8, v7, 7, v8
	v_ashrrev_i32_e32 v8, 7, v8
	s_delay_alu instid0(VALU_DEP_1) | instskip(SKIP_4) | instid1(VALU_DEP_1)
	v_lshl_add_u32 v9, v8, 2, s0
	ds_load_b32 v9, v9 offset:1024
	s_wait_dscnt 0x0
	v_cmp_lt_i32_e32 vcc_lo, v9, v4
	v_dual_cndmask_b32 v7, v8, v7 :: v_dual_add_nc_u32 v10, 1, v8
	v_cndmask_b32_e32 v6, v6, v10, vcc_lo
	s_or_b32 exec_lo, exec_lo, s2
	s_delay_alu instid0(SALU_CYCLE_1) | instskip(NEXT) | instid1(VALU_DEP_1)
	s_mov_b32 s2, exec_lo
	v_cmpx_lt_i32_e64 v6, v7
	s_cbranch_execz .LBB23_57
.LBB23_61:
	v_sub_nc_u32_e32 v8, v6, v7
	s_delay_alu instid0(VALU_DEP_1) | instskip(NEXT) | instid1(VALU_DEP_1)
	v_lshl_add_u32 v8, v7, 5, v8
	v_ashrrev_i32_e32 v8, 5, v8
	s_delay_alu instid0(VALU_DEP_1) | instskip(SKIP_4) | instid1(VALU_DEP_1)
	v_lshl_add_u32 v9, v8, 2, s0
	ds_load_b32 v9, v9 offset:1024
	s_wait_dscnt 0x0
	v_cmp_lt_i32_e32 vcc_lo, v9, v4
	v_dual_cndmask_b32 v7, v8, v7 :: v_dual_add_nc_u32 v10, 1, v8
	v_cndmask_b32_e32 v6, v6, v10, vcc_lo
	s_or_b32 exec_lo, exec_lo, s2
	s_delay_alu instid0(SALU_CYCLE_1) | instskip(NEXT) | instid1(VALU_DEP_1)
	s_mov_b32 s2, exec_lo
	v_cmpx_lt_i32_e64 v6, v7
	s_cbranch_execz .LBB23_58
.LBB23_62:
	v_sub_nc_u32_e32 v8, v6, v7
	s_delay_alu instid0(VALU_DEP_1) | instskip(NEXT) | instid1(VALU_DEP_1)
	v_lshl_add_u32 v8, v7, 4, v8
	v_ashrrev_i32_e32 v8, 4, v8
	s_delay_alu instid0(VALU_DEP_1) | instskip(SKIP_4) | instid1(VALU_DEP_1)
	v_lshl_add_u32 v9, v8, 2, s0
	ds_load_b32 v9, v9 offset:1024
	s_wait_dscnt 0x0
	v_cmp_lt_i32_e32 vcc_lo, v9, v4
	v_dual_cndmask_b32 v7, v8, v7 :: v_dual_add_nc_u32 v10, 1, v8
	v_cndmask_b32_e32 v6, v6, v10, vcc_lo
	s_or_b32 exec_lo, exec_lo, s2
	s_delay_alu instid0(SALU_CYCLE_1) | instskip(NEXT) | instid1(VALU_DEP_1)
	s_mov_b32 s2, exec_lo
	v_cmpx_lt_i32_e64 v6, v7
	s_cbranch_execz .LBB23_66
.LBB23_63:
	s_mov_b32 s3, 0
.LBB23_64:                              ; =>This Inner Loop Header: Depth=1
	v_sub_nc_u32_e32 v8, v6, v7
	s_delay_alu instid0(VALU_DEP_1) | instskip(NEXT) | instid1(VALU_DEP_1)
	v_lshl_add_u32 v8, v7, 1, v8
	v_ashrrev_i32_e32 v8, 1, v8
	s_delay_alu instid0(VALU_DEP_1) | instskip(SKIP_4) | instid1(VALU_DEP_1)
	v_lshl_add_u32 v9, v8, 2, s0
	ds_load_b32 v9, v9 offset:1024
	s_wait_dscnt 0x0
	v_cmp_lt_i32_e32 vcc_lo, v9, v4
	v_dual_cndmask_b32 v7, v8, v7 :: v_dual_add_nc_u32 v10, 1, v8
	v_cndmask_b32_e32 v6, v6, v10, vcc_lo
	s_delay_alu instid0(VALU_DEP_1) | instskip(SKIP_1) | instid1(SALU_CYCLE_1)
	v_cmp_ge_i32_e32 vcc_lo, v6, v7
	s_or_b32 s3, vcc_lo, s3
	s_and_not1_b32 exec_lo, exec_lo, s3
	s_cbranch_execnz .LBB23_64
; %bb.65:
	s_or_b32 exec_lo, exec_lo, s3
.LBB23_66:
	s_delay_alu instid0(SALU_CYCLE_1) | instskip(SKIP_3) | instid1(VALU_DEP_1)
	s_or_b32 exec_lo, exec_lo, s2
	v_sub_nc_u32_e32 v0, v0, v2
	v_sub_nc_u32_e32 v8, v5, v6
	s_mov_b32 s0, exec_lo
	v_add_nc_u32_e32 v7, v8, v0
	s_delay_alu instid0(VALU_DEP_1) | instskip(NEXT) | instid1(VALU_DEP_1)
	v_ashrrev_i32_e32 v0, 1, v7
	v_max_i32_e32 v0, v0, v8
	s_delay_alu instid0(VALU_DEP_1) | instskip(NEXT) | instid1(VALU_DEP_1)
	v_add_nc_u32_e32 v6, v6, v0
	v_add_min_i32_e64 v6, v6, 1, v26
	s_delay_alu instid0(VALU_DEP_1) | instskip(NEXT) | instid1(VALU_DEP_1)
	v_dual_mov_b32 v5, 0 :: v_dual_sub_nc_u32 v6, v6, v5
	v_cmpx_lt_i32_e32 0, v6
	s_cbranch_execz .LBB23_70
; %bb.67:
	v_mov_b32_e32 v5, 0
	s_mov_b32 s2, 0
.LBB23_68:                              ; =>This Inner Loop Header: Depth=1
	s_delay_alu instid0(VALU_DEP_1) | instskip(NEXT) | instid1(VALU_DEP_1)
	v_add_nc_u32_e32 v9, v5, v6
	v_lshrrev_b32_e32 v9, 1, v9
	s_delay_alu instid0(VALU_DEP_1) | instskip(SKIP_4) | instid1(VALU_DEP_1)
	v_lshl_add_u32 v10, v9, 2, v3
	ds_load_b32 v10, v10 offset:1024
	s_wait_dscnt 0x0
	v_cmp_lt_i32_e32 vcc_lo, v4, v10
	v_dual_cndmask_b32 v6, v6, v9 :: v_dual_add_nc_u32 v11, 1, v9
	v_cndmask_b32_e32 v5, v11, v5, vcc_lo
	s_delay_alu instid0(VALU_DEP_1) | instskip(SKIP_1) | instid1(SALU_CYCLE_1)
	v_cmp_ge_i32_e32 vcc_lo, v5, v6
	s_or_b32 s2, vcc_lo, s2
	s_and_not1_b32 exec_lo, exec_lo, s2
	s_cbranch_execnz .LBB23_68
; %bb.69:
	s_or_b32 exec_lo, exec_lo, s2
.LBB23_70:
	s_delay_alu instid0(SALU_CYCLE_1) | instskip(NEXT) | instid1(VALU_DEP_2)
	s_or_b32 exec_lo, exec_lo, s0
	v_add_nc_u32_e32 v3, v5, v8
	s_wait_dscnt 0x0
	s_delay_alu instid0(VALU_DEP_1) | instskip(SKIP_1) | instid1(VALU_DEP_2)
	v_min_i32_e32 v4, v3, v0
	v_cmp_lt_i32_e32 vcc_lo, v0, v3
	v_dual_sub_nc_u32 v5, v7, v4 :: v_dual_add_nc_u32 v4, 1, v4
	s_delay_alu instid0(VALU_DEP_1) | instskip(NEXT) | instid1(VALU_DEP_2)
	v_add_nc_u32_e32 v0, v5, v2
	v_cmp_eq_u32_e64 s0, v5, v4
	s_and_b32 s0, vcc_lo, s0
	s_delay_alu instid0(SALU_CYCLE_1)
	v_cndmask_b32_e64 v3, 0, 1, s0
.LBB23_71:
	s_or_b32 exec_lo, exec_lo, s1
	s_lshl_b32 s0, s30, 16
	s_delay_alu instid0(VALU_DEP_1) | instid1(SALU_CYCLE_1)
	v_dual_add_nc_u32 v1, v3, v1 :: v_dual_bitop2_b32 v2, s0, v26 bitop3:0x54
	v_sub_co_u32 v4, s0, v16, 1
	s_mov_b32 s1, exec_lo
	v_sub_nc_u32_e32 v1, v1, v0
	v_cndmask_b32_e64 v4, v4, 0xff, s0
	s_delay_alu instid0(VALU_DEP_2) | instskip(NEXT) | instid1(VALU_DEP_1)
	v_lshl_or_b32 v3, v0, 16, v1
	v_dual_lshlrev_b32 v4, 2, v4 :: v_dual_cndmask_b32 v3, v3, v2, s0
	v_dual_add_nc_u32 v2, s30, v1 :: v_dual_lshlrev_b32 v5, 2, v0
	ds_store_b32 v4, v3 offset:18432
	v_lshlrev_b32_e32 v6, 2, v2
	s_wait_dscnt 0x0
	s_barrier_signal -1
	s_barrier_wait -1
	ds_load_b32 v30, v5 offset:19456
	ds_load_b32 v3, v6 offset:19456
	ds_load_b32 v11, v28
	s_wait_dscnt 0x2
	v_dual_mov_b32 v4, v0 :: v_dual_mov_b32 v29, v30
	s_wait_dscnt 0x1
	v_cmpx_ge_i32_e64 v3, v30
; %bb.72:
	v_add_nc_u32_e32 v4, 0x4800, v5
	ds_load_b32 v29, v4 offset:1028
	v_add_nc_u32_e32 v4, 1, v0
; %bb.73:
	s_or_b32 exec_lo, exec_lo, s1
	v_mov_b32_e32 v5, v3
	s_mov_b32 s1, exec_lo
	v_cmpx_ge_i32_e64 v30, v3
; %bb.74:
	v_add_nc_u32_e32 v5, 0x4800, v6
	v_add_nc_u32_e32 v2, 1, v2
	ds_load_b32 v5, v5 offset:1028
; %bb.75:
	s_or_b32 exec_lo, exec_lo, s1
	s_wait_dscnt 0x0
	v_dual_mov_b32 v31, v29 :: v_dual_mov_b32 v6, v4
	s_mov_b32 s1, exec_lo
	v_cmpx_ge_i32_e64 v5, v29
; %bb.76:
	v_lshlrev_b32_e32 v6, 2, v4
	ds_load_b32 v31, v6 offset:19460
	v_add_nc_u32_e32 v6, 1, v4
; %bb.77:
	s_or_b32 exec_lo, exec_lo, s1
	v_dual_mov_b32 v7, v5 :: v_dual_mov_b32 v8, v2
	s_mov_b32 s1, exec_lo
	v_cmpx_ge_i32_e64 v29, v5
; %bb.78:
	v_dual_lshlrev_b32 v7, 2, v2 :: v_dual_add_nc_u32 v8, 1, v2
	ds_load_b32 v7, v7 offset:19460
; %bb.79:
	s_or_b32 exec_lo, exec_lo, s1
	s_wait_dscnt 0x0
	v_dual_mov_b32 v32, v31 :: v_dual_mov_b32 v9, v6
	s_mov_b32 s1, exec_lo
	v_cmpx_ge_i32_e64 v7, v31
; %bb.80:
	v_lshlrev_b32_e32 v9, 2, v6
	ds_load_b32 v32, v9 offset:19460
	v_add_nc_u32_e32 v9, 1, v6
; %bb.81:
	s_or_b32 exec_lo, exec_lo, s1
	v_dual_mov_b32 v10, v7 :: v_dual_mov_b32 v12, v8
	s_mov_b32 s1, exec_lo
	v_cmpx_ge_i32_e64 v31, v7
; %bb.82:
	v_dual_lshlrev_b32 v10, 2, v8 :: v_dual_add_nc_u32 v12, 1, v8
	;; [unrolled: 18-line block ×5, first 2 shown]
	ds_load_b32 v45, v36 offset:19460
; %bb.95:
	s_or_b32 exec_lo, exec_lo, s1
	s_wait_dscnt 0x0
	v_dual_mov_b32 v36, v35 :: v_dual_mov_b32 v47, v25
	s_mov_b32 s1, exec_lo
	v_cmpx_ge_i32_e64 v45, v35
; %bb.96:
	v_dual_lshlrev_b32 v36, 2, v25 :: v_dual_add_nc_u32 v47, 1, v25
	ds_load_b32 v36, v36 offset:19460
; %bb.97:
	s_or_b32 exec_lo, exec_lo, s1
	v_dual_mov_b32 v49, v45 :: v_dual_mov_b32 v48, v46
	s_mov_b32 s1, exec_lo
	v_cmpx_ge_i32_e64 v35, v45
; %bb.98:
	v_dual_lshlrev_b32 v37, 2, v46 :: v_dual_add_nc_u32 v48, 1, v46
	ds_load_b32 v49, v37 offset:19460
; %bb.99:
	s_or_b32 exec_lo, exec_lo, s1
	s_wait_dscnt 0x0
	v_dual_mov_b32 v37, v36 :: v_dual_mov_b32 v50, v47
	s_mov_b32 s1, exec_lo
	v_cmpx_ge_i32_e64 v49, v36
; %bb.100:
	v_dual_lshlrev_b32 v37, 2, v47 :: v_dual_add_nc_u32 v50, 1, v47
	ds_load_b32 v37, v37 offset:19460
; %bb.101:
	s_or_b32 exec_lo, exec_lo, s1
	v_dual_mov_b32 v51, v49 :: v_dual_mov_b32 v52, v48
	s_mov_b32 s1, exec_lo
	v_cmpx_ge_i32_e64 v36, v49
; %bb.102:
	v_dual_lshlrev_b32 v38, 2, v48 :: v_dual_add_nc_u32 v52, 1, v48
	;; [unrolled: 17-line block ×8, first 2 shown]
	ds_load_b32 v70, v44 offset:19460
; %bb.127:
	s_or_b32 exec_lo, exec_lo, s1
	s_wait_dscnt 0x0
	v_dual_mov_b32 v44, v43 :: v_dual_mov_b32 v71, v68
	s_mov_b32 s1, exec_lo
	v_cmpx_ge_i32_e64 v70, v43
; %bb.128:
	v_dual_lshlrev_b32 v44, 2, v68 :: v_dual_add_nc_u32 v71, 1, v68
	ds_load_b32 v44, v44 offset:19460
; %bb.129:
	s_or_b32 exec_lo, exec_lo, s1
	v_dual_mov_b32 v73, v70 :: v_dual_mov_b32 v72, v69
	s_mov_b32 s1, exec_lo
	v_cmpx_ge_i32_e64 v43, v70
; %bb.130:
	v_lshlrev_b32_e32 v72, 2, v69
	ds_load_b32 v73, v72 offset:19460
	v_add_nc_u32_e32 v72, 1, v69
; %bb.131:
	s_or_b32 exec_lo, exec_lo, s1
	v_and_b32_e32 v74, 0xffff, v11
	v_ashrrev_i32_e32 v11, 16, v11
	v_cmp_ne_u32_e64 s1, v70, v43
	v_cmp_ne_u32_e64 s17, v45, v35
	;; [unrolled: 1-line block ×3, first 2 shown]
	v_add_nc_u32_e32 v70, s30, v74
	v_cmp_ge_i32_e64 s14, v22, v11
	v_cmp_ge_i32_e64 s18, v9, v11
	;; [unrolled: 1-line block ×3, first 2 shown]
	v_cmp_gt_i32_e64 s22, v74, v1
	v_cmp_ge_i32_e64 s15, v24, v70
	v_cmp_ge_i32_e64 s19, v12, v70
	;; [unrolled: 1-line block ×5, first 2 shown]
	s_or_b32 s41, s14, s15
	v_cmp_ge_i32_e64 s14, v13, v11
	v_cmp_ge_i32_e64 s15, v15, v70
	s_or_b32 s43, s18, s19
	s_or_b32 s31, s20, s21
	v_cmp_ge_i32_e64 s19, v4, v11
	v_cmp_ge_i32_e64 s20, v2, v70
	s_or_b32 s42, s14, s15
	v_cmp_ne_u32_e64 s15, v7, v31
	v_cmp_gt_i32_e64 s21, v11, v0
	v_cmp_ne_u32_e64 s18, v5, v29
	s_or_b32 s19, s19, s20
	v_cmp_ge_i32_e64 s4, v68, v11
	s_or_b32 s31, s15, s31
	v_cmp_eq_u32_e64 s15, v3, v30
	s_and_b32 s20, s21, s22
	v_cmp_ge_i32_e64 s5, v65, v11
	v_cmp_ge_i32_e64 s7, v69, v70
	;; [unrolled: 1-line block ×5, first 2 shown]
	s_or_b32 s40, s12, s13
	v_cmp_ne_u32_e64 s13, v14, v33
	v_cmp_ne_u32_e64 s14, v10, v32
	s_or_b32 s18, s18, s19
	s_and_b32 s15, s20, s15
	v_cndmask_b32_e64 v0, 4, 0, s31
	v_cndmask_b32_e64 v1, 2, 0, s18
	;; [unrolled: 1-line block ×3, first 2 shown]
	v_cmp_ge_i32_e64 s3, v71, v11
	v_cmp_ge_i32_e64 s6, v72, v70
	s_or_b32 s34, s4, s7
	s_or_b32 s35, s5, s8
	;; [unrolled: 1-line block ×3, first 2 shown]
	v_cmp_ge_i32_e64 s7, v56, v11
	v_cmp_ge_i32_e64 s8, v58, v70
	;; [unrolled: 1-line block ×4, first 2 shown]
	v_cmp_ne_u32_e64 s12, v23, v34
	s_or_b32 s13, s13, s42
	s_or_b32 s14, s14, s43
	v_cndmask_b32_e64 v3, 16, 0, s13
	v_cndmask_b32_e64 v4, 8, 0, s14
	v_or3_b32 v0, v1, v2, v0
	s_or_b32 s33, s3, s6
	v_cmp_ge_i32_e64 s5, v59, v11
	v_cmp_ge_i32_e64 s6, v61, v70
	;; [unrolled: 1-line block ×4, first 2 shown]
	s_or_b32 s38, s7, s8
	s_or_b32 s39, s9, s10
	v_cmp_ge_i32_e64 s8, v50, v11
	v_cmp_ge_i32_e64 s9, v52, v70
	v_cmp_ne_u32_e64 s10, v49, v36
	s_or_b32 s17, s17, s40
	s_or_b32 s12, s12, s41
	v_cndmask_b32_e64 v1, 64, 0, s17
	v_cndmask_b32_e64 v2, 32, 0, s12
	v_or3_b32 v0, v0, v4, v3
	s_or_b32 s37, s5, s6
	v_cmp_ne_u32_e64 s6, v54, v38
	s_or_b32 s11, s11, s16
	v_cmp_ne_u32_e64 s7, v51, v37
	s_or_b32 s8, s8, s9
	s_or_b32 s9, s10, s11
	v_or3_b32 v50, v0, v2, v1
	v_cndmask_b32_e64 v3, 0x80, 0, s9
	v_cmp_ne_u32_e64 s4, v60, v40
	s_or_b32 s6, s6, s39
	v_cmp_ne_u32_e64 s5, v57, v39
	v_cndmask_b32_e64 v0, 0x200, 0, s6
	s_or_b32 s6, s7, s8
	v_dual_mov_b32 v9, 0 :: v_dual_bitop2_b32 v49, v3, v50 bitop3:0x54
	v_cndmask_b32_e64 v1, 0x100, 0, s6
	s_or_b32 s4, s4, s37
	v_cmp_ne_u32_e64 s3, v63, v41
	v_cndmask_b32_e64 v2, 0x800, 0, s4
	s_or_b32 s4, s5, s38
	v_or3_b32 v48, v1, v0, v49
	v_cndmask_b32_e64 v3, 0x400, 0, s4
	s_or_b32 s2, s2, s35
	s_wait_dscnt 0x0
	v_cmp_ne_u32_e32 vcc_lo, v73, v44
	v_cndmask_b32_e64 v0, 0x2000, 0, s2
	s_or_b32 s2, s3, s36
	v_or3_b32 v47, v3, v2, v48
	v_cndmask_b32_e64 v1, 0x1000, 0, s2
	s_or_b32 s2, vcc_lo, s33
	s_or_b32 s1, s1, s34
	v_cndmask_b32_e64 v2, 0x8000, 0, s2
	v_cndmask_b32_e64 v3, 0x4000, 0, s1
	v_or3_b32 v46, v1, v0, v47
	s_mov_b32 s1, -1
	s_cmp_lg_u32 s23, 0
	s_barrier_signal -1
	s_delay_alu instid0(VALU_DEP_1) | instskip(SKIP_1) | instid1(VALU_DEP_1)
	v_or3_b32 v45, v3, v2, v46
	s_barrier_wait -1
	v_bcnt_u32_b32 v8, v45, 0
	s_cbranch_scc0 .LBB23_188
; %bb.132:
	v_mbcnt_lo_u32_b32 v51, -1, 0
	s_delay_alu instid0(VALU_DEP_2) | instskip(SKIP_2) | instid1(VALU_DEP_4)
	v_mov_b64_e32 v[2:3], v[8:9]
	v_mov_b32_dpp v4, v8 row_shr:1 row_mask:0xf bank_mask:0xf
	v_mov_b32_dpp v7, v9 row_shr:1 row_mask:0xf bank_mask:0xf
	v_dual_mov_b32 v5, v9 :: v_dual_bitop2_b32 v10, 15, v51 bitop3:0x40
	v_mov_b32_e32 v0, v8
	s_mov_b32 s1, exec_lo
	s_delay_alu instid0(VALU_DEP_2)
	v_cmpx_ne_u32_e32 0, v10
; %bb.133:
	v_mov_b32_e32 v6, 0
	s_delay_alu instid0(VALU_DEP_1) | instskip(NEXT) | instid1(VALU_DEP_1)
	v_mov_b32_e32 v5, v6
	v_add_nc_u64_e32 v[0:1], v[4:5], v[8:9]
	s_delay_alu instid0(VALU_DEP_1) | instskip(NEXT) | instid1(VALU_DEP_1)
	v_add_nc_u64_e32 v[4:5], v[6:7], v[0:1]
	v_mov_b64_e32 v[2:3], v[4:5]
; %bb.134:
	s_or_b32 exec_lo, exec_lo, s1
	v_mov_b32_dpp v4, v0 row_shr:2 row_mask:0xf bank_mask:0xf
	v_mov_b32_dpp v7, v5 row_shr:2 row_mask:0xf bank_mask:0xf
	s_mov_b32 s1, exec_lo
	v_cmpx_lt_u32_e32 1, v10
; %bb.135:
	v_mov_b32_e32 v6, 0
	s_delay_alu instid0(VALU_DEP_1) | instskip(NEXT) | instid1(VALU_DEP_1)
	v_mov_b32_e32 v5, v6
	v_add_nc_u64_e32 v[0:1], v[2:3], v[4:5]
	s_delay_alu instid0(VALU_DEP_1) | instskip(NEXT) | instid1(VALU_DEP_1)
	v_add_nc_u64_e32 v[4:5], v[6:7], v[0:1]
	v_mov_b64_e32 v[2:3], v[4:5]
; %bb.136:
	s_or_b32 exec_lo, exec_lo, s1
	v_mov_b32_dpp v4, v0 row_shr:4 row_mask:0xf bank_mask:0xf
	v_mov_b32_dpp v7, v5 row_shr:4 row_mask:0xf bank_mask:0xf
	s_mov_b32 s1, exec_lo
	v_cmpx_lt_u32_e32 3, v10
	;; [unrolled: 14-line block ×3, first 2 shown]
; %bb.139:
	v_mov_b32_e32 v6, 0
	s_delay_alu instid0(VALU_DEP_1) | instskip(NEXT) | instid1(VALU_DEP_1)
	v_mov_b32_e32 v5, v6
	v_add_nc_u64_e32 v[0:1], v[2:3], v[4:5]
	s_delay_alu instid0(VALU_DEP_1) | instskip(NEXT) | instid1(VALU_DEP_1)
	v_add_nc_u64_e32 v[2:3], v[6:7], v[0:1]
	v_mov_b32_e32 v5, v3
; %bb.140:
	s_or_b32 exec_lo, exec_lo, s1
	ds_swizzle_b32 v4, v0 offset:swizzle(BROADCAST,32,15)
	ds_swizzle_b32 v7, v5 offset:swizzle(BROADCAST,32,15)
	v_and_b32_e32 v1, 16, v51
	s_mov_b32 s1, exec_lo
	s_delay_alu instid0(VALU_DEP_1)
	v_cmpx_ne_u32_e32 0, v1
	s_cbranch_execz .LBB23_142
; %bb.141:
	v_mov_b32_e32 v6, 0
	s_delay_alu instid0(VALU_DEP_1) | instskip(SKIP_1) | instid1(VALU_DEP_1)
	v_mov_b32_e32 v5, v6
	s_wait_dscnt 0x1
	v_add_nc_u64_e32 v[0:1], v[2:3], v[4:5]
	s_wait_dscnt 0x0
	s_delay_alu instid0(VALU_DEP_1)
	v_add_nc_u64_e32 v[2:3], v[6:7], v[0:1]
.LBB23_142:
	s_or_b32 exec_lo, exec_lo, s1
	v_and_b32_e32 v1, 0x3e0, v16
	s_wait_dscnt 0x1
	v_lshrrev_b32_e32 v4, 5, v16
	s_delay_alu instid0(VALU_DEP_2) | instskip(NEXT) | instid1(VALU_DEP_1)
	v_min_u32_e32 v1, 0xe0, v1
	v_or_b32_e32 v1, 31, v1
	s_delay_alu instid0(VALU_DEP_1) | instskip(NEXT) | instid1(VALU_DEP_4)
	v_cmp_eq_u32_e32 vcc_lo, v16, v1
	v_lshlrev_b32_e32 v1, 3, v4
	s_and_saveexec_b32 s1, vcc_lo
; %bb.143:
	ds_store_b64 v1, v[2:3] offset:18432
; %bb.144:
	s_or_b32 exec_lo, exec_lo, s1
	s_delay_alu instid0(SALU_CYCLE_1)
	s_mov_b32 s1, exec_lo
	s_wait_dscnt 0x0
	s_barrier_signal -1
	s_barrier_wait -1
	v_cmpx_gt_u32_e32 8, v16
	s_cbranch_execz .LBB23_152
; %bb.145:
	v_dual_lshlrev_b32 v13, 3, v16 :: v_dual_bitop2_b32 v12, 7, v51 bitop3:0x40
	s_mov_b32 s2, exec_lo
	ds_load_b64 v[2:3], v13 offset:18432
	s_wait_dscnt 0x0
	v_mov_b32_dpp v6, v2 row_shr:1 row_mask:0xf bank_mask:0xf
	v_mov_b32_dpp v11, v3 row_shr:1 row_mask:0xf bank_mask:0xf
	v_mov_b32_e32 v4, v2
	v_cmpx_ne_u32_e32 0, v12
; %bb.146:
	v_mov_b32_e32 v10, 0
	s_delay_alu instid0(VALU_DEP_1) | instskip(NEXT) | instid1(VALU_DEP_1)
	v_mov_b32_e32 v7, v10
	v_add_nc_u64_e32 v[4:5], v[2:3], v[6:7]
	s_delay_alu instid0(VALU_DEP_1)
	v_add_nc_u64_e32 v[2:3], v[10:11], v[4:5]
; %bb.147:
	s_or_b32 exec_lo, exec_lo, s2
	v_mov_b32_dpp v6, v4 row_shr:2 row_mask:0xf bank_mask:0xf
	s_delay_alu instid0(VALU_DEP_2)
	v_mov_b32_dpp v11, v3 row_shr:2 row_mask:0xf bank_mask:0xf
	s_mov_b32 s2, exec_lo
	v_cmpx_lt_u32_e32 1, v12
; %bb.148:
	v_mov_b32_e32 v10, 0
	s_delay_alu instid0(VALU_DEP_1) | instskip(NEXT) | instid1(VALU_DEP_1)
	v_mov_b32_e32 v7, v10
	v_add_nc_u64_e32 v[4:5], v[2:3], v[6:7]
	s_delay_alu instid0(VALU_DEP_1)
	v_add_nc_u64_e32 v[2:3], v[10:11], v[4:5]
; %bb.149:
	s_or_b32 exec_lo, exec_lo, s2
	v_add_nc_u32_e32 v10, 0x4800, v13
	v_mov_b32_dpp v4, v4 row_shr:4 row_mask:0xf bank_mask:0xf
	s_delay_alu instid0(VALU_DEP_3)
	v_mov_b32_dpp v7, v3 row_shr:4 row_mask:0xf bank_mask:0xf
	s_mov_b32 s2, exec_lo
	v_cmpx_lt_u32_e32 3, v12
; %bb.150:
	v_mov_b32_e32 v6, 0
	s_delay_alu instid0(VALU_DEP_1) | instskip(NEXT) | instid1(VALU_DEP_1)
	v_mov_b32_e32 v5, v6
	v_add_nc_u64_e32 v[2:3], v[2:3], v[4:5]
	s_delay_alu instid0(VALU_DEP_1)
	v_add_nc_u64_e32 v[2:3], v[2:3], v[6:7]
; %bb.151:
	s_or_b32 exec_lo, exec_lo, s2
	ds_store_b64 v10, v[2:3]
.LBB23_152:
	s_or_b32 exec_lo, exec_lo, s1
	s_delay_alu instid0(SALU_CYCLE_1)
	s_mov_b32 s2, exec_lo
	v_cmp_gt_u32_e32 vcc_lo, 32, v16
	s_wait_dscnt 0x0
	s_barrier_signal -1
	s_barrier_wait -1
                                        ; implicit-def: $vgpr10_vgpr11
	v_cmpx_lt_u32_e32 31, v16
	s_cbranch_execz .LBB23_154
; %bb.153:
	ds_load_b64 v[10:11], v1 offset:18424
	s_wait_dscnt 0x0
	v_add_nc_u32_e32 v0, v0, v10
.LBB23_154:
	s_or_b32 exec_lo, exec_lo, s2
	v_sub_co_u32 v1, s1, v51, 1
	s_delay_alu instid0(VALU_DEP_1) | instskip(NEXT) | instid1(VALU_DEP_1)
	v_cmp_gt_i32_e64 s2, 0, v1
	v_cndmask_b32_e64 v1, v1, v51, s2
	s_delay_alu instid0(VALU_DEP_1)
	v_lshlrev_b32_e32 v1, 2, v1
	ds_bpermute_b32 v52, v1, v0
	s_and_saveexec_b32 s2, vcc_lo
	s_cbranch_execz .LBB23_193
; %bb.155:
	v_mov_b32_e32 v3, 0
	ds_load_b64 v[0:1], v3 offset:18488
	s_and_saveexec_b32 s3, s1
	s_cbranch_execz .LBB23_157
; %bb.156:
	s_add_co_i32 s4, s23, 32
	s_mov_b32 s5, 0
	v_mov_b32_e32 v2, 1
	s_lshl_b64 s[4:5], s[4:5], 4
	s_delay_alu instid0(SALU_CYCLE_1) | instskip(NEXT) | instid1(SALU_CYCLE_1)
	s_add_nc_u64 s[4:5], s[28:29], s[4:5]
	v_mov_b64_e32 v[4:5], s[4:5]
	s_wait_dscnt 0x0
	;;#ASMSTART
	global_store_b128 v[4:5], v[0:3] off scope:SCOPE_DEV	
s_wait_storecnt 0x0
	;;#ASMEND
.LBB23_157:
	s_or_b32 exec_lo, exec_lo, s3
	v_xad_u32 v12, v51, -1, s23
	s_mov_b32 s4, 0
	s_mov_b32 s3, exec_lo
	s_delay_alu instid0(VALU_DEP_1) | instskip(NEXT) | instid1(VALU_DEP_1)
	v_add_nc_u32_e32 v2, 32, v12
	v_lshl_add_u64 v[2:3], v[2:3], 4, s[28:29]
	;;#ASMSTART
	global_load_b128 v[4:7], v[2:3] off scope:SCOPE_DEV	
s_wait_loadcnt 0x0
	;;#ASMEND
	v_and_b32_e32 v7, 0xff, v6
	s_delay_alu instid0(VALU_DEP_1)
	v_cmpx_eq_u16_e32 0, v7
	s_cbranch_execz .LBB23_160
.LBB23_158:                             ; =>This Inner Loop Header: Depth=1
	;;#ASMSTART
	global_load_b128 v[4:7], v[2:3] off scope:SCOPE_DEV	
s_wait_loadcnt 0x0
	;;#ASMEND
	v_and_b32_e32 v7, 0xff, v6
	s_delay_alu instid0(VALU_DEP_1) | instskip(SKIP_1) | instid1(SALU_CYCLE_1)
	v_cmp_ne_u16_e32 vcc_lo, 0, v7
	s_or_b32 s4, vcc_lo, s4
	s_and_not1_b32 exec_lo, exec_lo, s4
	s_cbranch_execnz .LBB23_158
; %bb.159:
	s_or_b32 exec_lo, exec_lo, s4
.LBB23_160:
	s_delay_alu instid0(SALU_CYCLE_1)
	s_or_b32 exec_lo, exec_lo, s3
	v_cmp_ne_u32_e32 vcc_lo, 31, v51
	v_and_b32_e32 v3, 0xff, v6
	v_lshlrev_b32_e64 v54, v51, -1
	s_mov_b32 s3, exec_lo
	v_add_co_ci_u32_e64 v2, null, 0, v51, vcc_lo
	s_delay_alu instid0(VALU_DEP_3) | instskip(NEXT) | instid1(VALU_DEP_2)
	v_cmp_eq_u16_e32 vcc_lo, 2, v3
	v_lshlrev_b32_e32 v53, 2, v2
	v_and_or_b32 v2, vcc_lo, v54, 0x80000000
	s_delay_alu instid0(VALU_DEP_1)
	v_ctz_i32_b32_e32 v7, v2
	v_mov_b32_e32 v2, v4
	ds_bpermute_b32 v14, v53, v4
	ds_bpermute_b32 v23, v53, v5
	v_cmpx_lt_u32_e64 v51, v7
	s_cbranch_execz .LBB23_162
; %bb.161:
	v_mov_b32_e32 v22, 0
	s_delay_alu instid0(VALU_DEP_1) | instskip(SKIP_1) | instid1(VALU_DEP_1)
	v_mov_b32_e32 v15, v22
	s_wait_dscnt 0x1
	v_add_nc_u64_e32 v[2:3], v[4:5], v[14:15]
	s_wait_dscnt 0x0
	s_delay_alu instid0(VALU_DEP_1)
	v_add_nc_u64_e32 v[4:5], v[22:23], v[2:3]
.LBB23_162:
	s_or_b32 exec_lo, exec_lo, s3
	v_cmp_gt_u32_e32 vcc_lo, 30, v51
	v_add_nc_u32_e32 v56, 2, v51
	s_mov_b32 s3, exec_lo
	v_cndmask_b32_e64 v3, 0, 2, vcc_lo
	s_delay_alu instid0(VALU_DEP_1)
	v_add_lshl_u32 v55, v3, v51, 2
	s_wait_dscnt 0x1
	ds_bpermute_b32 v14, v55, v2
	s_wait_dscnt 0x1
	ds_bpermute_b32 v23, v55, v5
	v_cmpx_le_u32_e64 v56, v7
	s_cbranch_execz .LBB23_164
; %bb.163:
	v_mov_b32_e32 v22, 0
	s_delay_alu instid0(VALU_DEP_1) | instskip(SKIP_1) | instid1(VALU_DEP_1)
	v_mov_b32_e32 v15, v22
	s_wait_dscnt 0x1
	v_add_nc_u64_e32 v[2:3], v[4:5], v[14:15]
	s_wait_dscnt 0x0
	s_delay_alu instid0(VALU_DEP_1)
	v_add_nc_u64_e32 v[4:5], v[22:23], v[2:3]
.LBB23_164:
	s_or_b32 exec_lo, exec_lo, s3
	v_cmp_gt_u32_e32 vcc_lo, 28, v51
	v_add_nc_u32_e32 v58, 4, v51
	s_mov_b32 s3, exec_lo
	v_cndmask_b32_e64 v3, 0, 4, vcc_lo
	s_delay_alu instid0(VALU_DEP_1)
	v_add_lshl_u32 v57, v3, v51, 2
	s_wait_dscnt 0x1
	ds_bpermute_b32 v14, v57, v2
	s_wait_dscnt 0x1
	ds_bpermute_b32 v23, v57, v5
	v_cmpx_le_u32_e64 v58, v7
	;; [unrolled: 23-line block ×3, first 2 shown]
	s_cbranch_execz .LBB23_168
; %bb.167:
	v_mov_b32_e32 v22, 0
	s_delay_alu instid0(VALU_DEP_1) | instskip(SKIP_1) | instid1(VALU_DEP_1)
	v_mov_b32_e32 v15, v22
	s_wait_dscnt 0x1
	v_add_nc_u64_e32 v[2:3], v[4:5], v[14:15]
	s_wait_dscnt 0x0
	s_delay_alu instid0(VALU_DEP_1)
	v_add_nc_u64_e32 v[4:5], v[22:23], v[2:3]
.LBB23_168:
	s_or_b32 exec_lo, exec_lo, s3
	v_lshl_or_b32 v61, v51, 2, 64
	v_add_nc_u32_e32 v62, 16, v51
	s_mov_b32 s3, exec_lo
	ds_bpermute_b32 v2, v61, v2
	ds_bpermute_b32 v15, v61, v5
	v_cmpx_le_u32_e64 v62, v7
	s_cbranch_execz .LBB23_170
; %bb.169:
	s_wait_dscnt 0x3
	v_mov_b32_e32 v14, 0
	s_delay_alu instid0(VALU_DEP_1) | instskip(SKIP_1) | instid1(VALU_DEP_1)
	v_mov_b32_e32 v3, v14
	s_wait_dscnt 0x1
	v_add_nc_u64_e32 v[2:3], v[4:5], v[2:3]
	s_wait_dscnt 0x0
	s_delay_alu instid0(VALU_DEP_1)
	v_add_nc_u64_e32 v[4:5], v[2:3], v[14:15]
.LBB23_170:
	s_or_b32 exec_lo, exec_lo, s3
	v_mov_b32_e32 v13, 0
	s_branch .LBB23_173
.LBB23_171:                             ;   in Loop: Header=BB23_173 Depth=1
	s_or_b32 exec_lo, exec_lo, s3
	s_delay_alu instid0(VALU_DEP_1)
	v_add_nc_u64_e32 v[4:5], v[4:5], v[2:3]
	v_subrev_nc_u32_e32 v12, 32, v12
	s_mov_b32 s3, 0
.LBB23_172:                             ;   in Loop: Header=BB23_173 Depth=1
	s_delay_alu instid0(SALU_CYCLE_1)
	s_and_b32 vcc_lo, exec_lo, s3
	s_cbranch_vccnz .LBB23_189
.LBB23_173:                             ; =>This Loop Header: Depth=1
                                        ;     Child Loop BB23_176 Depth 2
	s_wait_dscnt 0x1
	v_and_b32_e32 v2, 0xff, v6
	s_mov_b32 s3, -1
	s_delay_alu instid0(VALU_DEP_1)
	v_cmp_ne_u16_e32 vcc_lo, 2, v2
	v_mov_b64_e32 v[2:3], v[4:5]
                                        ; implicit-def: $vgpr4_vgpr5
	s_cmp_lg_u32 vcc_lo, exec_lo
	s_cbranch_scc1 .LBB23_172
; %bb.174:                              ;   in Loop: Header=BB23_173 Depth=1
	s_wait_dscnt 0x0
	v_lshl_add_u64 v[14:15], v[12:13], 4, s[28:29]
	;;#ASMSTART
	global_load_b128 v[4:7], v[14:15] off scope:SCOPE_DEV	
s_wait_loadcnt 0x0
	;;#ASMEND
	v_and_b32_e32 v7, 0xff, v6
	s_mov_b32 s3, exec_lo
	s_delay_alu instid0(VALU_DEP_1)
	v_cmpx_eq_u16_e32 0, v7
	s_cbranch_execz .LBB23_178
; %bb.175:                              ;   in Loop: Header=BB23_173 Depth=1
	s_mov_b32 s4, 0
.LBB23_176:                             ;   Parent Loop BB23_173 Depth=1
                                        ; =>  This Inner Loop Header: Depth=2
	;;#ASMSTART
	global_load_b128 v[4:7], v[14:15] off scope:SCOPE_DEV	
s_wait_loadcnt 0x0
	;;#ASMEND
	v_and_b32_e32 v7, 0xff, v6
	s_delay_alu instid0(VALU_DEP_1) | instskip(SKIP_1) | instid1(SALU_CYCLE_1)
	v_cmp_ne_u16_e32 vcc_lo, 0, v7
	s_or_b32 s4, vcc_lo, s4
	s_and_not1_b32 exec_lo, exec_lo, s4
	s_cbranch_execnz .LBB23_176
; %bb.177:                              ;   in Loop: Header=BB23_173 Depth=1
	s_or_b32 exec_lo, exec_lo, s4
.LBB23_178:                             ;   in Loop: Header=BB23_173 Depth=1
	s_delay_alu instid0(SALU_CYCLE_1)
	s_or_b32 exec_lo, exec_lo, s3
	v_and_b32_e32 v7, 0xff, v6
	ds_bpermute_b32 v22, v53, v4
	ds_bpermute_b32 v25, v53, v5
	v_mov_b32_e32 v14, v4
	s_mov_b32 s3, exec_lo
	v_cmp_eq_u16_e32 vcc_lo, 2, v7
	v_and_or_b32 v7, vcc_lo, v54, 0x80000000
	s_delay_alu instid0(VALU_DEP_1) | instskip(NEXT) | instid1(VALU_DEP_1)
	v_ctz_i32_b32_e32 v7, v7
	v_cmpx_lt_u32_e64 v51, v7
	s_cbranch_execz .LBB23_180
; %bb.179:                              ;   in Loop: Header=BB23_173 Depth=1
	v_dual_mov_b32 v23, v13 :: v_dual_mov_b32 v24, v13
	s_wait_dscnt 0x1
	s_delay_alu instid0(VALU_DEP_1) | instskip(SKIP_1) | instid1(VALU_DEP_1)
	v_add_nc_u64_e32 v[14:15], v[4:5], v[22:23]
	s_wait_dscnt 0x0
	v_add_nc_u64_e32 v[4:5], v[24:25], v[14:15]
.LBB23_180:                             ;   in Loop: Header=BB23_173 Depth=1
	s_or_b32 exec_lo, exec_lo, s3
	ds_bpermute_b32 v24, v55, v14
	ds_bpermute_b32 v23, v55, v5
	s_mov_b32 s3, exec_lo
	v_cmpx_le_u32_e64 v56, v7
	s_cbranch_execz .LBB23_182
; %bb.181:                              ;   in Loop: Header=BB23_173 Depth=1
	s_wait_dscnt 0x2
	v_dual_mov_b32 v25, v13 :: v_dual_mov_b32 v22, v13
	s_wait_dscnt 0x1
	s_delay_alu instid0(VALU_DEP_1) | instskip(SKIP_1) | instid1(VALU_DEP_1)
	v_add_nc_u64_e32 v[14:15], v[4:5], v[24:25]
	s_wait_dscnt 0x0
	v_add_nc_u64_e32 v[4:5], v[22:23], v[14:15]
.LBB23_182:                             ;   in Loop: Header=BB23_173 Depth=1
	s_or_b32 exec_lo, exec_lo, s3
	s_wait_dscnt 0x1
	ds_bpermute_b32 v24, v57, v14
	s_wait_dscnt 0x1
	ds_bpermute_b32 v23, v57, v5
	s_mov_b32 s3, exec_lo
	v_cmpx_le_u32_e64 v58, v7
	s_cbranch_execz .LBB23_184
; %bb.183:                              ;   in Loop: Header=BB23_173 Depth=1
	v_dual_mov_b32 v25, v13 :: v_dual_mov_b32 v22, v13
	s_wait_dscnt 0x1
	s_delay_alu instid0(VALU_DEP_1) | instskip(SKIP_1) | instid1(VALU_DEP_1)
	v_add_nc_u64_e32 v[14:15], v[4:5], v[24:25]
	s_wait_dscnt 0x0
	v_add_nc_u64_e32 v[4:5], v[22:23], v[14:15]
.LBB23_184:                             ;   in Loop: Header=BB23_173 Depth=1
	s_or_b32 exec_lo, exec_lo, s3
	s_wait_dscnt 0x1
	ds_bpermute_b32 v24, v59, v14
	s_wait_dscnt 0x1
	ds_bpermute_b32 v23, v59, v5
	s_mov_b32 s3, exec_lo
	v_cmpx_le_u32_e64 v60, v7
	s_cbranch_execz .LBB23_186
; %bb.185:                              ;   in Loop: Header=BB23_173 Depth=1
	v_dual_mov_b32 v25, v13 :: v_dual_mov_b32 v22, v13
	s_wait_dscnt 0x1
	s_delay_alu instid0(VALU_DEP_1) | instskip(SKIP_1) | instid1(VALU_DEP_1)
	v_add_nc_u64_e32 v[14:15], v[4:5], v[24:25]
	s_wait_dscnt 0x0
	v_add_nc_u64_e32 v[4:5], v[22:23], v[14:15]
.LBB23_186:                             ;   in Loop: Header=BB23_173 Depth=1
	s_or_b32 exec_lo, exec_lo, s3
	ds_bpermute_b32 v22, v61, v14
	ds_bpermute_b32 v15, v61, v5
	s_mov_b32 s3, exec_lo
	v_cmpx_le_u32_e64 v62, v7
	s_cbranch_execz .LBB23_171
; %bb.187:                              ;   in Loop: Header=BB23_173 Depth=1
	s_wait_dscnt 0x2
	v_dual_mov_b32 v23, v13 :: v_dual_mov_b32 v14, v13
	s_wait_dscnt 0x1
	s_delay_alu instid0(VALU_DEP_1) | instskip(SKIP_1) | instid1(VALU_DEP_1)
	v_add_nc_u64_e32 v[4:5], v[4:5], v[22:23]
	s_wait_dscnt 0x0
	v_add_nc_u64_e32 v[4:5], v[4:5], v[14:15]
	s_branch .LBB23_171
.LBB23_188:
                                        ; implicit-def: $vgpr0_vgpr1
                                        ; implicit-def: $vgpr4_vgpr5
	s_and_b32 vcc_lo, exec_lo, s1
	s_movk_i32 s6, 0x4840
	s_cbranch_vccnz .LBB23_194
	s_branch .LBB23_217
.LBB23_189:
	s_and_saveexec_b32 s3, s1
	s_cbranch_execz .LBB23_191
; %bb.190:
	s_add_co_i32 s4, s23, 32
	s_mov_b32 s5, 0
	v_dual_mov_b32 v6, 2 :: v_dual_mov_b32 v7, 0
	s_lshl_b64 s[4:5], s[4:5], 4
	v_add_nc_u64_e32 v[4:5], v[2:3], v[0:1]
	s_add_nc_u64 s[4:5], s[28:29], s[4:5]
	s_delay_alu instid0(SALU_CYCLE_1)
	v_mov_b64_e32 v[12:13], s[4:5]
	;;#ASMSTART
	global_store_b128 v[12:13], v[4:7] off scope:SCOPE_DEV	
s_wait_storecnt 0x0
	;;#ASMEND
	ds_store_b128 v7, v[0:3] offset:18496
.LBB23_191:
	s_or_b32 exec_lo, exec_lo, s3
	s_delay_alu instid0(SALU_CYCLE_1)
	s_and_b32 exec_lo, exec_lo, s0
; %bb.192:
	v_mov_b32_e32 v0, 0
	ds_store_b64 v0, v[2:3] offset:18488
.LBB23_193:
	s_or_b32 exec_lo, exec_lo, s2
	v_dual_mov_b32 v0, 0 :: v_dual_cndmask_b32 v4, 0, v11, s1
	s_wait_dscnt 0x0
	s_barrier_signal -1
	s_barrier_wait -1
	ds_load_b64 v[2:3], v0 offset:18488
	s_wait_dscnt 0x0
	s_barrier_signal -1
	s_barrier_wait -1
	ds_load_b64 v[0:1], v0 offset:18504
	v_cndmask_b32_e64 v6, v52, v10, s1
	v_cndmask_b32_e64 v5, v4, 0, s0
	s_delay_alu instid0(VALU_DEP_2) | instskip(NEXT) | instid1(VALU_DEP_1)
	v_cndmask_b32_e64 v4, v6, 0, s0
	v_add_nc_u64_e32 v[4:5], v[2:3], v[4:5]
	s_movk_i32 s6, 0x4840
	s_branch .LBB23_217
.LBB23_194:
	v_mbcnt_lo_u32_b32 v10, -1, 0
	v_mov_b32_e32 v3, 0
	s_wait_dscnt 0x0
	v_mov_b64_e32 v[0:1], v[8:9]
	v_mov_b32_dpp v2, v8 row_shr:1 row_mask:0xf bank_mask:0xf
	s_mov_b32 s1, exec_lo
	v_and_b32_e32 v6, 15, v10
	v_mov_b32_dpp v5, v3 row_shr:1 row_mask:0xf bank_mask:0xf
	s_delay_alu instid0(VALU_DEP_2)
	v_cmpx_ne_u32_e32 0, v6
; %bb.195:
	v_mov_b32_e32 v4, 0
	s_delay_alu instid0(VALU_DEP_1) | instskip(NEXT) | instid1(VALU_DEP_1)
	v_mov_b32_e32 v3, v4
	v_add_nc_u64_e32 v[8:9], v[2:3], v[8:9]
	s_delay_alu instid0(VALU_DEP_1) | instskip(NEXT) | instid1(VALU_DEP_1)
	v_add_nc_u64_e32 v[2:3], v[4:5], v[8:9]
	v_mov_b64_e32 v[0:1], v[2:3]
; %bb.196:
	s_or_b32 exec_lo, exec_lo, s1
	v_mov_b32_dpp v2, v8 row_shr:2 row_mask:0xf bank_mask:0xf
	v_mov_b32_dpp v5, v3 row_shr:2 row_mask:0xf bank_mask:0xf
	s_mov_b32 s1, exec_lo
	v_cmpx_lt_u32_e32 1, v6
; %bb.197:
	v_mov_b32_e32 v4, 0
	s_delay_alu instid0(VALU_DEP_1) | instskip(NEXT) | instid1(VALU_DEP_1)
	v_mov_b32_e32 v3, v4
	v_add_nc_u64_e32 v[8:9], v[0:1], v[2:3]
	s_delay_alu instid0(VALU_DEP_1) | instskip(NEXT) | instid1(VALU_DEP_1)
	v_add_nc_u64_e32 v[2:3], v[4:5], v[8:9]
	v_mov_b64_e32 v[0:1], v[2:3]
; %bb.198:
	s_or_b32 exec_lo, exec_lo, s1
	v_mov_b32_dpp v2, v8 row_shr:4 row_mask:0xf bank_mask:0xf
	v_mov_b32_dpp v5, v3 row_shr:4 row_mask:0xf bank_mask:0xf
	s_mov_b32 s1, exec_lo
	v_cmpx_lt_u32_e32 3, v6
	;; [unrolled: 14-line block ×3, first 2 shown]
; %bb.201:
	v_mov_b32_e32 v4, 0
	s_delay_alu instid0(VALU_DEP_1) | instskip(NEXT) | instid1(VALU_DEP_1)
	v_mov_b32_e32 v3, v4
	v_add_nc_u64_e32 v[8:9], v[0:1], v[2:3]
	s_delay_alu instid0(VALU_DEP_1) | instskip(NEXT) | instid1(VALU_DEP_1)
	v_add_nc_u64_e32 v[0:1], v[4:5], v[8:9]
	v_mov_b32_e32 v3, v1
; %bb.202:
	s_or_b32 exec_lo, exec_lo, s1
	ds_swizzle_b32 v2, v8 offset:swizzle(BROADCAST,32,15)
	ds_swizzle_b32 v5, v3 offset:swizzle(BROADCAST,32,15)
	v_and_b32_e32 v3, 16, v10
	s_mov_b32 s1, exec_lo
	s_delay_alu instid0(VALU_DEP_1)
	v_cmpx_ne_u32_e32 0, v3
	s_cbranch_execz .LBB23_204
; %bb.203:
	v_mov_b32_e32 v4, 0
	s_delay_alu instid0(VALU_DEP_1) | instskip(SKIP_1) | instid1(VALU_DEP_1)
	v_mov_b32_e32 v3, v4
	s_wait_dscnt 0x1
	v_add_nc_u64_e32 v[8:9], v[0:1], v[2:3]
	s_wait_dscnt 0x0
	s_delay_alu instid0(VALU_DEP_1)
	v_add_nc_u64_e32 v[0:1], v[4:5], v[8:9]
.LBB23_204:
	s_or_b32 exec_lo, exec_lo, s1
	s_wait_dscnt 0x1
	v_and_b32_e32 v2, 0x3e0, v16
	s_mov_b32 s1, exec_lo
	v_lshrrev_b32_e32 v3, 5, v16
	s_delay_alu instid0(VALU_DEP_2) | instskip(NEXT) | instid1(VALU_DEP_1)
	v_min_u32_e32 v2, 0xe0, v2
	v_dual_lshlrev_b32 v9, 3, v3 :: v_dual_bitop2_b32 v2, 31, v2 bitop3:0x54
	s_delay_alu instid0(VALU_DEP_1)
	v_cmpx_eq_u32_e64 v16, v2
; %bb.205:
	ds_store_b64 v9, v[0:1] offset:18432
; %bb.206:
	s_or_b32 exec_lo, exec_lo, s1
	s_delay_alu instid0(SALU_CYCLE_1)
	s_mov_b32 s1, exec_lo
	s_wait_dscnt 0x0
	s_barrier_signal -1
	s_barrier_wait -1
	v_cmpx_gt_u32_e32 8, v16
	s_cbranch_execz .LBB23_214
; %bb.207:
	v_dual_add_nc_u32 v11, v28, v27 :: v_dual_bitop2_b32 v12, 7, v10 bitop3:0x40
	s_mov_b32 s2, exec_lo
	ds_load_b64 v[0:1], v11
	s_wait_dscnt 0x0
	v_mov_b32_dpp v4, v0 row_shr:1 row_mask:0xf bank_mask:0xf
	v_mov_b32_dpp v7, v1 row_shr:1 row_mask:0xf bank_mask:0xf
	v_mov_b32_e32 v2, v0
	v_cmpx_ne_u32_e32 0, v12
; %bb.208:
	v_mov_b32_e32 v6, 0
	s_delay_alu instid0(VALU_DEP_1) | instskip(NEXT) | instid1(VALU_DEP_1)
	v_mov_b32_e32 v5, v6
	v_add_nc_u64_e32 v[2:3], v[0:1], v[4:5]
	s_delay_alu instid0(VALU_DEP_1)
	v_add_nc_u64_e32 v[0:1], v[6:7], v[2:3]
; %bb.209:
	s_or_b32 exec_lo, exec_lo, s2
	v_mov_b32_dpp v4, v2 row_shr:2 row_mask:0xf bank_mask:0xf
	s_delay_alu instid0(VALU_DEP_2)
	v_mov_b32_dpp v7, v1 row_shr:2 row_mask:0xf bank_mask:0xf
	s_mov_b32 s2, exec_lo
	v_cmpx_lt_u32_e32 1, v12
; %bb.210:
	v_mov_b32_e32 v6, 0
	s_delay_alu instid0(VALU_DEP_1) | instskip(NEXT) | instid1(VALU_DEP_1)
	v_mov_b32_e32 v5, v6
	v_add_nc_u64_e32 v[2:3], v[0:1], v[4:5]
	s_delay_alu instid0(VALU_DEP_1)
	v_add_nc_u64_e32 v[0:1], v[6:7], v[2:3]
; %bb.211:
	s_or_b32 exec_lo, exec_lo, s2
	v_mov_b32_dpp v2, v2 row_shr:4 row_mask:0xf bank_mask:0xf
	s_delay_alu instid0(VALU_DEP_2)
	v_mov_b32_dpp v5, v1 row_shr:4 row_mask:0xf bank_mask:0xf
	s_mov_b32 s2, exec_lo
	v_cmpx_lt_u32_e32 3, v12
; %bb.212:
	v_mov_b32_e32 v4, 0
	s_delay_alu instid0(VALU_DEP_1) | instskip(NEXT) | instid1(VALU_DEP_1)
	v_mov_b32_e32 v3, v4
	v_add_nc_u64_e32 v[0:1], v[0:1], v[2:3]
	s_delay_alu instid0(VALU_DEP_1)
	v_add_nc_u64_e32 v[0:1], v[0:1], v[4:5]
; %bb.213:
	s_or_b32 exec_lo, exec_lo, s2
	ds_store_b64 v11, v[0:1]
.LBB23_214:
	s_or_b32 exec_lo, exec_lo, s1
	v_mov_b64_e32 v[0:1], 0
	v_mov_b64_e32 v[2:3], 0
	s_mov_b32 s1, exec_lo
	s_wait_dscnt 0x0
	s_barrier_signal -1
	s_barrier_wait -1
	v_cmpx_lt_u32_e32 31, v16
; %bb.215:
	ds_load_b64 v[2:3], v9 offset:18424
; %bb.216:
	s_or_b32 exec_lo, exec_lo, s1
	s_wait_dscnt 0x0
	v_sub_co_u32 v3, vcc_lo, v10, 1
	s_movk_i32 s6, 0x4838
	v_cmp_gt_i32_e64 s1, 0, v3
	s_delay_alu instid0(VALU_DEP_1) | instskip(NEXT) | instid1(VALU_DEP_1)
	v_cndmask_b32_e64 v3, v3, v10, s1
	v_dual_add_nc_u32 v4, v8, v2 :: v_dual_lshlrev_b32 v3, 2, v3
	ds_bpermute_b32 v3, v3, v4
	s_wait_dscnt 0x0
	v_cndmask_b32_e32 v4, v3, v2, vcc_lo
.LBB23_217:
	s_wait_dscnt 0x0
	s_delay_alu instid0(VALU_DEP_1)
	v_dual_mov_b32 v2, s6 :: v_dual_sub_nc_u32 v4, v4, v0
	s_xor_b32 s1, s12, -1
	s_xor_b32 s2, s13, -1
	;; [unrolled: 1-line block ×3, first 2 shown]
	ds_load_b64 v[2:3], v2
	s_xor_b32 s4, s31, -1
	s_xor_b32 s5, s18, -1
	s_wait_dscnt 0x0
	s_barrier_signal -1
	s_barrier_wait -1
	s_and_saveexec_b32 s6, s15
	s_cbranch_execnz .LBB23_268
; %bb.218:
	s_or_b32 exec_lo, exec_lo, s6
	s_and_saveexec_b32 s6, s5
	s_cbranch_execnz .LBB23_269
.LBB23_219:
	s_or_b32 exec_lo, exec_lo, s6
	s_and_saveexec_b32 s5, s4
	s_cbranch_execnz .LBB23_270
.LBB23_220:
	s_or_b32 exec_lo, exec_lo, s5
	s_and_saveexec_b32 s4, s3
	s_cbranch_execnz .LBB23_271
.LBB23_221:
	s_or_b32 exec_lo, exec_lo, s4
	s_and_saveexec_b32 s3, s2
	s_cbranch_execnz .LBB23_272
.LBB23_222:
	s_or_b32 exec_lo, exec_lo, s3
	s_and_saveexec_b32 s2, s1
.LBB23_223:
	v_dual_lshlrev_b32 v5, 2, v4 :: v_dual_add_nc_u32 v4, 1, v4
	ds_store_b32 v5, v34 offset:19456
.LBB23_224:
	s_or_b32 exec_lo, exec_lo, s2
	v_and_b32_e32 v5, 64, v50
	s_mov_b32 s1, exec_lo
	s_delay_alu instid0(VALU_DEP_1)
	v_cmpx_ne_u32_e32 0, v5
; %bb.225:
	v_dual_lshlrev_b32 v5, 2, v4 :: v_dual_add_nc_u32 v4, 1, v4
	ds_store_b32 v5, v35 offset:19456
; %bb.226:
	s_or_b32 exec_lo, exec_lo, s1
	v_and_b32_e32 v5, 0x80, v49
	s_mov_b32 s1, exec_lo
	s_delay_alu instid0(VALU_DEP_1)
	v_cmpx_ne_u32_e32 0, v5
; %bb.227:
	v_dual_lshlrev_b32 v5, 2, v4 :: v_dual_add_nc_u32 v4, 1, v4
	ds_store_b32 v5, v36 offset:19456
; %bb.228:
	;; [unrolled: 9-line block ×9, first 2 shown]
	s_or_b32 exec_lo, exec_lo, s1
	v_and_b32_e32 v5, 0x8000, v45
	s_mov_b32 s1, exec_lo
	s_delay_alu instid0(VALU_DEP_1)
	v_cmpx_ne_u32_e32 0, v5
; %bb.243:
	v_lshlrev_b32_e32 v4, 2, v4
	ds_store_b32 v4, v44 offset:19456
; %bb.244:
	s_or_b32 exec_lo, exec_lo, s1
	s_delay_alu instid0(SALU_CYCLE_1)
	s_mov_b32 s1, exec_lo
	s_wait_dscnt 0x0
	s_barrier_signal -1
	s_barrier_wait -1
	v_cmpx_lt_i32_e64 v16, v2
	s_cbranch_execz .LBB23_252
; %bb.245:
	v_lshlrev_b64_e32 v[4:5], 2, v[0:1]
	v_xad_u32 v7, v16, -1, v2
	v_mov_b32_e32 v6, v16
	s_mov_b32 s3, -1
	s_mov_b32 s2, exec_lo
	s_delay_alu instid0(VALU_DEP_2)
	v_cmpx_lt_u32_e32 0xff, v7
	s_cbranch_execz .LBB23_249
; %bb.246:
	v_dual_mov_b32 v9, 0 :: v_dual_lshrrev_b32 v6, 8, v7
	v_mov_b64_e32 v[10:11], v[16:17]
	v_lshl_add_u32 v14, v16, 2, 0x4c00
	s_mov_b32 s3, 0
	s_delay_alu instid0(VALU_DEP_3) | instskip(SKIP_1) | instid1(VALU_DEP_2)
	v_add_nc_u32_e32 v12, 1, v6
	v_add_nc_u64_e32 v[6:7], s[24:25], v[4:5]
	v_and_b32_e32 v13, 0x1fffffe, v12
	s_delay_alu instid0(VALU_DEP_1)
	v_mov_b32_e32 v15, v13
.LBB23_247:                             ; =>This Inner Loop Header: Depth=1
	ds_load_2addr_stride64_b32 v[22:23], v14 offset1:4
	v_dual_mov_b32 v8, v10 :: v_dual_add_nc_u32 v15, -2, v15
	v_add_nc_u32_e32 v10, 0x200, v10
	v_add_nc_u32_e32 v14, 0x800, v14
	s_delay_alu instid0(VALU_DEP_3) | instskip(SKIP_2) | instid1(VALU_DEP_2)
	v_lshl_add_u64 v[24:25], v[8:9], 2, v[6:7]
	v_dual_mov_b32 v8, v11 :: v_dual_add_nc_u32 v11, 0x200, v11
	v_cmp_eq_u32_e32 vcc_lo, 0, v15
	v_lshl_add_u64 v[28:29], v[8:9], 2, v[6:7]
	s_wait_dscnt 0x0
	s_clause 0x1
	global_store_b32 v[24:25], v22, off
	global_store_b32 v[28:29], v23, off
	s_or_b32 s3, vcc_lo, s3
	s_wait_xcnt 0x0
	s_and_not1_b32 exec_lo, exec_lo, s3
	s_cbranch_execnz .LBB23_247
; %bb.248:
	s_or_b32 exec_lo, exec_lo, s3
	v_cmp_ne_u32_e32 vcc_lo, v12, v13
	v_lshl_add_u32 v6, v13, 8, v16
	s_or_not1_b32 s3, vcc_lo, exec_lo
.LBB23_249:
	s_or_b32 exec_lo, exec_lo, s2
	s_delay_alu instid0(SALU_CYCLE_1)
	s_and_b32 exec_lo, exec_lo, s3
	s_cbranch_execz .LBB23_252
; %bb.250:
	v_add_nc_u64_e32 v[4:5], s[24:25], v[4:5]
	v_mov_b32_e32 v7, 0
	v_lshl_add_u32 v8, v6, 2, 0x4c00
	s_mov_b32 s2, 0
	s_delay_alu instid0(VALU_DEP_2)
	v_lshl_add_u64 v[4:5], v[6:7], 2, v[4:5]
.LBB23_251:                             ; =>This Inner Loop Header: Depth=1
	ds_load_b32 v7, v8
	v_add_nc_u32_e32 v6, 0x100, v6
	v_add_nc_u32_e32 v8, 0x400, v8
	s_delay_alu instid0(VALU_DEP_2)
	v_cmp_ge_i32_e32 vcc_lo, v6, v2
	s_or_b32 s2, vcc_lo, s2
	s_wait_dscnt 0x0
	global_store_b32 v[4:5], v7, off
	s_wait_xcnt 0x0
	v_add_nc_u64_e32 v[4:5], 0x400, v[4:5]
	s_and_not1_b32 exec_lo, exec_lo, s2
	s_cbranch_execnz .LBB23_251
.LBB23_252:
	s_or_b32 exec_lo, exec_lo, s1
	s_and_saveexec_b32 s1, s0
	s_cbranch_execz .LBB23_254
; %bb.253:
	v_add_nc_u64_e32 v[0:1], v[2:3], v[0:1]
	v_mov_b32_e32 v2, 0
	global_store_b64 v2, v[0:1], s[26:27]
.LBB23_254:
	s_wait_xcnt 0x0
	s_or_b32 exec_lo, exec_lo, s1
	s_mov_b32 s0, 0
.LBB23_255:
	s_delay_alu instid0(SALU_CYCLE_1)
	s_and_b32 vcc_lo, exec_lo, s0
	s_cbranch_vccz .LBB23_482
; %bb.256:
	v_dual_mov_b32 v17, 0 :: v_dual_lshlrev_b32 v8, 2, v16
	v_add_nc_u32_e32 v24, 0x100, v16
	v_subrev_nc_u32_e32 v2, s30, v16
	v_add_nc_u32_e32 v13, 0x200, v16
	s_delay_alu instid0(VALU_DEP_4) | instskip(SKIP_3) | instid1(VALU_DEP_4)
	v_dual_mov_b32 v9, v17 :: v_dual_add_nc_u32 v22, 0x300, v16
	v_mov_b32_e32 v3, v17
	v_subrev_nc_u32_e32 v4, s30, v24
	v_dual_mov_b32 v5, v17 :: v_dual_mov_b32 v7, v17
	v_add_nc_u64_e32 v[0:1], v[20:21], v[8:9]
	v_subrev_nc_u32_e32 v6, s30, v13
	v_lshl_add_u64 v[2:3], v[2:3], 2, v[18:19]
	v_cmp_gt_i32_e32 vcc_lo, s30, v16
	v_lshl_add_u64 v[4:5], v[4:5], 2, v[18:19]
	v_cmp_gt_i32_e64 s0, s30, v24
	v_or_b32_e32 v23, 0x400, v16
	v_add_nc_u64_e32 v[10:11], 0x400, v[0:1]
	v_add_nc_u64_e32 v[20:21], 0x800, v[0:1]
	v_subrev_nc_u32_e32 v12, s30, v22
	v_dual_cndmask_b32 v15, v3, v1 :: v_dual_cndmask_b32 v14, v2, v0
	v_lshl_add_u64 v[6:7], v[6:7], 2, v[18:19]
	v_cmp_gt_i32_e32 vcc_lo, s30, v13
	v_mov_b32_e32 v13, v17
	v_dual_cndmask_b32 v5, v5, v11, s0 :: v_dual_cndmask_b32 v4, v4, v10, s0
	global_load_b32 v2, v[14:15], off
	global_load_b32 v3, v[4:5], off
	s_wait_xcnt 0x0
	v_cndmask_b32_e32 v5, v7, v21, vcc_lo
	v_lshl_add_u64 v[10:11], v[12:13], 2, v[18:19]
	v_subrev_nc_u32_e32 v12, s30, v23
	v_cndmask_b32_e32 v4, v6, v20, vcc_lo
	v_add_nc_u64_e32 v[6:7], 0xc00, v[0:1]
	v_add_nc_u64_e32 v[14:15], 0x1000, v[0:1]
	v_cmp_gt_i32_e32 vcc_lo, s30, v22
	v_lshl_add_u64 v[12:13], v[12:13], 2, v[18:19]
	v_cmp_gt_i32_e64 s0, s30, v23
	v_add_nc_u64_e32 v[22:23], 0x1c00, v[0:1]
	v_or_b32_e32 v25, 0x800, v16
	v_dual_cndmask_b32 v7, v11, v7, vcc_lo :: v_dual_mov_b32 v11, v17
	s_delay_alu instid0(VALU_DEP_4)
	v_dual_cndmask_b32 v12, v12, v14, s0 :: v_dual_cndmask_b32 v13, v13, v15, s0
	v_add_nc_u64_e32 v[14:15], 0x1400, v[0:1]
	v_dual_cndmask_b32 v6, v10, v6 :: v_dual_add_nc_u32 v9, 0x500, v16
	global_load_b32 v4, v[4:5], off
	v_add_nc_u32_e32 v27, 0x900, v16
	v_add_nc_u64_e32 v[28:29], 0x2c00, v[0:1]
	v_subrev_nc_u32_e32 v10, s30, v9
	v_cmp_gt_i32_e32 vcc_lo, s30, v9
	global_load_b32 v5, v[6:7], off
	v_add_nc_u32_e32 v9, 0x700, v16
	v_mov_b32_e32 v21, v17
	v_lshl_add_u64 v[10:11], v[10:11], 2, v[18:19]
	v_add_nc_u64_e32 v[36:37], 0x3400, v[0:1]
	v_add_nc_u64_e32 v[38:39], 0x3800, v[0:1]
	v_subrev_nc_u32_e32 v20, s30, v9
	v_cmp_gt_i32_e64 s0, s30, v9
	v_dual_cndmask_b32 v11, v11, v15 :: v_dual_cndmask_b32 v10, v10, v14
	v_add_nc_u64_e32 v[14:15], 0x1800, v[0:1]
	s_wait_xcnt 0x0
	v_add_nc_u32_e32 v7, 0x600, v16
	global_load_b32 v6, v[12:13], off
	s_wait_xcnt 0x0
	v_mov_b32_e32 v13, v17
	v_subrev_nc_u32_e32 v12, s30, v7
	v_cmp_gt_i32_e32 vcc_lo, s30, v7
	global_load_b32 v7, v[10:11], off
	s_wait_xcnt 0x0
	v_lshl_add_u64 v[10:11], v[20:21], 2, v[18:19]
	v_add_nc_u64_e32 v[20:21], 0x2000, v[0:1]
	v_lshl_add_u64 v[12:13], v[12:13], 2, v[18:19]
	s_delay_alu instid0(VALU_DEP_3) | instskip(NEXT) | instid1(VALU_DEP_2)
	v_dual_cndmask_b32 v11, v11, v23, s0 :: v_dual_cndmask_b32 v10, v10, v22, s0
	v_dual_cndmask_b32 v13, v13, v15 :: v_dual_cndmask_b32 v12, v12, v14
	v_subrev_nc_u32_e32 v14, s30, v27
	v_cmp_gt_i32_e32 vcc_lo, s30, v25
	v_add_nc_u64_e32 v[22:23], 0x2400, v[0:1]
	v_cmp_gt_i32_e64 s0, s30, v27
	global_load_b32 v9, v[12:13], off
	s_wait_xcnt 0x0
	v_subrev_nc_u32_e32 v12, s30, v25
	v_mov_b32_e32 v13, v17
	v_add_nc_u32_e32 v25, 0xa00, v16
	global_load_b32 v10, v[10:11], off
	v_add_nc_u32_e32 v27, 0xe00, v16
	v_lshl_add_u64 v[12:13], v[12:13], 2, v[18:19]
	v_mov_b32_e32 v15, v17
	s_delay_alu instid0(VALU_DEP_3) | instskip(SKIP_1) | instid1(VALU_DEP_4)
	v_subrev_nc_u32_e32 v34, s30, v27
	v_cmp_gt_i32_e64 s1, s30, v27
	v_cndmask_b32_e32 v20, v12, v20, vcc_lo
	s_delay_alu instid0(VALU_DEP_4) | instskip(SKIP_3) | instid1(VALU_DEP_4)
	v_lshl_add_u64 v[14:15], v[14:15], 2, v[18:19]
	v_cndmask_b32_e32 v21, v13, v21, vcc_lo
	v_add_nc_u32_e32 v13, 0xb00, v16
	v_cmp_gt_i32_e32 vcc_lo, s30, v25
	v_dual_cndmask_b32 v15, v15, v23, s0 :: v_dual_cndmask_b32 v14, v14, v22, s0
	v_mov_b32_e32 v23, v17
	v_subrev_nc_u32_e32 v22, s30, v25
	global_load_b32 v11, v[20:21], off
	global_load_b32 v12, v[14:15], off
	s_wait_xcnt 0x0
	v_add_nc_u64_e32 v[14:15], 0x2800, v[0:1]
	v_or_b32_e32 v25, 0xc00, v16
	v_lshl_add_u64 v[20:21], v[22:23], 2, v[18:19]
	v_subrev_nc_u32_e32 v22, s30, v13
	s_delay_alu instid0(VALU_DEP_2) | instskip(NEXT) | instid1(VALU_DEP_2)
	v_cndmask_b32_e32 v30, v20, v14, vcc_lo
	v_lshl_add_u64 v[22:23], v[22:23], 2, v[18:19]
	s_delay_alu instid0(VALU_DEP_4)
	v_cndmask_b32_e32 v31, v21, v15, vcc_lo
	v_cmp_gt_i32_e32 vcc_lo, s30, v13
	v_subrev_nc_u32_e32 v14, s30, v25
	v_mov_b32_e32 v15, v17
	v_add_nc_u32_e32 v13, 0xd00, v16
	v_add_nc_u64_e32 v[20:21], 0x3000, v[0:1]
	v_dual_cndmask_b32 v23, v23, v29 :: v_dual_cndmask_b32 v22, v22, v28
	s_delay_alu instid0(VALU_DEP_4) | instskip(NEXT) | instid1(VALU_DEP_4)
	v_lshl_add_u64 v[14:15], v[14:15], 2, v[18:19]
	v_subrev_nc_u32_e32 v28, s30, v13
	v_cmp_gt_i32_e32 vcc_lo, s30, v25
	v_dual_mov_b32 v29, v17 :: v_dual_mov_b32 v35, v17
	v_cmp_gt_i32_e64 s0, s30, v13
	v_add_nc_u32_e32 v25, 0xf00, v16
	v_cndmask_b32_e32 v33, v15, v21, vcc_lo
	s_delay_alu instid0(VALU_DEP_4) | instskip(SKIP_2) | instid1(VALU_DEP_3)
	v_lshl_add_u64 v[28:29], v[28:29], 2, v[18:19]
	v_cndmask_b32_e32 v32, v14, v20, vcc_lo
	v_lshl_add_u64 v[34:35], v[34:35], 2, v[18:19]
	v_dual_cndmask_b32 v29, v29, v37, s0 :: v_dual_cndmask_b32 v28, v28, v36, s0
	s_delay_alu instid0(VALU_DEP_2)
	v_dual_cndmask_b32 v35, v35, v39, s1 :: v_dual_cndmask_b32 v34, v34, v38, s1
	global_load_b32 v15, v[30:31], off
	global_load_b32 v20, v[22:23], off
	;; [unrolled: 1-line block ×5, first 2 shown]
	s_wait_xcnt 0x3
	v_dual_mov_b32 v23, 0 :: v_dual_add_nc_u32 v22, s30, v26
	s_mov_b32 s0, exec_lo
	s_wait_xcnt 0x0
	s_delay_alu instid0(VALU_DEP_1)
	v_cmpx_lt_i32_e64 v25, v22
	s_cbranch_execz .LBB23_258
; %bb.257:
	v_subrev_nc_u32_e32 v28, s30, v25
	v_add_nc_u64_e32 v[0:1], 0x3c00, v[0:1]
	v_cmp_gt_i32_e32 vcc_lo, s30, v25
	v_mov_b32_e32 v29, 0
	s_delay_alu instid0(VALU_DEP_1) | instskip(NEXT) | instid1(VALU_DEP_1)
	v_lshl_add_u64 v[18:19], v[28:29], 2, v[18:19]
	v_dual_cndmask_b32 v1, v19, v1 :: v_dual_cndmask_b32 v0, v18, v0
	global_load_b32 v23, v[0:1], off
.LBB23_258:
	s_wait_xcnt 0x0
	s_or_b32 exec_lo, exec_lo, s0
	v_lshlrev_b32_e32 v0, 4, v16
	s_wait_loadcnt 0xd
	ds_store_2addr_stride64_b32 v8, v2, v3 offset0:4 offset1:8
	s_wait_loadcnt 0xb
	ds_store_2addr_stride64_b32 v8, v4, v5 offset0:12 offset1:16
	s_lshl_b32 s1, s30, 2
	s_mov_b32 s2, 0
	s_mov_b32 s0, exec_lo
	v_min_i32_e32 v1, v22, v0
	s_wait_loadcnt 0x9
	ds_store_2addr_stride64_b32 v8, v6, v7 offset0:20 offset1:24
	s_wait_loadcnt 0x7
	ds_store_2addr_stride64_b32 v8, v9, v10 offset0:28 offset1:32
	;; [unrolled: 2-line block ×6, first 2 shown]
	s_wait_storecnt_dscnt 0x0
	s_barrier_signal -1
	v_dual_sub_nc_u32 v0, v1, v26 :: v_dual_min_i32 v2, s30, v1
	s_barrier_wait -1
	s_delay_alu instid0(VALU_DEP_1) | instskip(NEXT) | instid1(VALU_DEP_1)
	v_max_i32_e32 v0, 0, v0
	v_cmpx_lt_i32_e64 v0, v2
	s_cbranch_execz .LBB23_262
; %bb.259:
	v_lshlrev_b32_e32 v3, 2, v1
	s_delay_alu instid0(VALU_DEP_1)
	v_add3_u32 v3, s1, v3, 0x400
.LBB23_260:                             ; =>This Inner Loop Header: Depth=1
	v_add_nc_u32_e32 v4, v2, v0
	s_delay_alu instid0(VALU_DEP_1) | instskip(NEXT) | instid1(VALU_DEP_1)
	v_lshrrev_b32_e32 v4, 1, v4
	v_not_b32_e32 v5, v4
	v_dual_lshlrev_b32 v6, 2, v4 :: v_dual_add_nc_u32 v7, 1, v4
	s_delay_alu instid0(VALU_DEP_2)
	v_lshl_add_u32 v5, v5, 2, v3
	ds_load_b32 v6, v6 offset:1024
	ds_load_b32 v5, v5
	s_wait_dscnt 0x0
	v_cmp_lt_i32_e32 vcc_lo, v5, v6
	v_cndmask_b32_e32 v2, v2, v4, vcc_lo
	v_cndmask_b32_e32 v0, v7, v0, vcc_lo
	s_delay_alu instid0(VALU_DEP_1) | instskip(SKIP_1) | instid1(SALU_CYCLE_1)
	v_cmp_ge_i32_e32 vcc_lo, v0, v2
	s_or_b32 s2, vcc_lo, s2
	s_and_not1_b32 exec_lo, exec_lo, s2
	s_cbranch_execnz .LBB23_260
; %bb.261:
	s_or_b32 exec_lo, exec_lo, s2
.LBB23_262:
	s_delay_alu instid0(SALU_CYCLE_1) | instskip(SKIP_2) | instid1(VALU_DEP_1)
	s_or_b32 exec_lo, exec_lo, s0
	v_dual_sub_nc_u32 v5, v1, v0 :: v_dual_mov_b32 v3, 0
	s_mov_b32 s2, exec_lo
	v_cmpx_lt_i32_e64 v5, v26
	s_cbranch_execz .LBB23_297
; %bb.263:
	v_lshl_add_u32 v3, v5, 2, s1
	v_dual_mov_b32 v2, 0 :: v_dual_mov_b32 v6, 0
	s_mov_b32 s0, exec_lo
	ds_load_b32 v4, v3 offset:1024
	v_cmpx_lt_i32_e32 0, v0
	s_cbranch_execnz .LBB23_273
; %bb.264:
	s_or_b32 exec_lo, exec_lo, s0
	s_delay_alu instid0(SALU_CYCLE_1)
	s_mov_b32 s0, exec_lo
	v_cmpx_lt_i32_e64 v2, v6
	s_cbranch_execnz .LBB23_274
.LBB23_265:
	s_or_b32 exec_lo, exec_lo, s0
	s_delay_alu instid0(SALU_CYCLE_1)
	s_mov_b32 s0, exec_lo
	v_cmpx_lt_i32_e64 v2, v6
	s_cbranch_execnz .LBB23_275
.LBB23_266:
	s_or_b32 exec_lo, exec_lo, s0
	s_delay_alu instid0(SALU_CYCLE_1)
	s_mov_b32 s0, exec_lo
	v_cmpx_lt_i32_e64 v2, v6
	s_cbranch_execnz .LBB23_276
.LBB23_267:
	s_or_b32 exec_lo, exec_lo, s0
	s_delay_alu instid0(SALU_CYCLE_1)
	s_mov_b32 s0, exec_lo
	v_cmpx_lt_i32_e64 v2, v6
	s_cbranch_execnz .LBB23_277
	s_branch .LBB23_280
.LBB23_268:
	v_dual_add_nc_u32 v5, 1, v4 :: v_dual_lshlrev_b32 v6, 2, v4
	s_delay_alu instid0(VALU_DEP_1)
	v_mov_b32_e32 v4, v5
	ds_store_b32 v6, v30 offset:19456
	s_or_b32 exec_lo, exec_lo, s6
	s_and_saveexec_b32 s6, s5
	s_cbranch_execz .LBB23_219
.LBB23_269:
	v_dual_lshlrev_b32 v5, 2, v4 :: v_dual_add_nc_u32 v4, 1, v4
	ds_store_b32 v5, v29 offset:19456
	s_or_b32 exec_lo, exec_lo, s6
	s_and_saveexec_b32 s5, s4
	s_cbranch_execz .LBB23_220
.LBB23_270:
	v_dual_lshlrev_b32 v5, 2, v4 :: v_dual_add_nc_u32 v4, 1, v4
	ds_store_b32 v5, v31 offset:19456
	s_or_b32 exec_lo, exec_lo, s5
	s_and_saveexec_b32 s4, s3
	s_cbranch_execz .LBB23_221
.LBB23_271:
	v_dual_lshlrev_b32 v5, 2, v4 :: v_dual_add_nc_u32 v4, 1, v4
	ds_store_b32 v5, v32 offset:19456
	s_or_b32 exec_lo, exec_lo, s4
	s_and_saveexec_b32 s3, s2
	s_cbranch_execz .LBB23_222
.LBB23_272:
	v_dual_lshlrev_b32 v5, 2, v4 :: v_dual_add_nc_u32 v4, 1, v4
	ds_store_b32 v5, v33 offset:19456
	s_or_b32 exec_lo, exec_lo, s3
	s_and_saveexec_b32 s2, s1
	s_cbranch_execnz .LBB23_223
	s_branch .LBB23_224
.LBB23_273:
	v_mul_lo_u32 v2, 0x1ff, v0
	s_delay_alu instid0(VALU_DEP_1) | instskip(NEXT) | instid1(VALU_DEP_1)
	v_ashrrev_i32_e32 v6, 9, v2
	v_dual_lshlrev_b32 v2, 2, v6 :: v_dual_add_nc_u32 v7, 1, v6
	ds_load_b32 v2, v2 offset:1024
	s_wait_dscnt 0x0
	v_cmp_lt_i32_e32 vcc_lo, v2, v4
	v_dual_cndmask_b32 v2, 0, v7, vcc_lo :: v_dual_cndmask_b32 v6, v6, v0, vcc_lo
	s_or_b32 exec_lo, exec_lo, s0
	s_delay_alu instid0(SALU_CYCLE_1) | instskip(NEXT) | instid1(VALU_DEP_1)
	s_mov_b32 s0, exec_lo
	v_cmpx_lt_i32_e64 v2, v6
	s_cbranch_execz .LBB23_265
.LBB23_274:
	v_sub_nc_u32_e32 v7, v2, v6
	s_delay_alu instid0(VALU_DEP_1) | instskip(NEXT) | instid1(VALU_DEP_1)
	v_lshl_add_u32 v7, v6, 7, v7
	v_ashrrev_i32_e32 v7, 7, v7
	s_delay_alu instid0(VALU_DEP_1)
	v_dual_lshlrev_b32 v9, 2, v7 :: v_dual_add_nc_u32 v10, 1, v7
	ds_load_b32 v9, v9 offset:1024
	s_wait_dscnt 0x0
	v_cmp_lt_i32_e32 vcc_lo, v9, v4
	v_cndmask_b32_e32 v2, v2, v10, vcc_lo
	v_cndmask_b32_e32 v6, v7, v6, vcc_lo
	s_or_b32 exec_lo, exec_lo, s0
	s_delay_alu instid0(SALU_CYCLE_1) | instskip(NEXT) | instid1(VALU_DEP_1)
	s_mov_b32 s0, exec_lo
	v_cmpx_lt_i32_e64 v2, v6
	s_cbranch_execz .LBB23_266
.LBB23_275:
	v_sub_nc_u32_e32 v7, v2, v6
	s_delay_alu instid0(VALU_DEP_1) | instskip(NEXT) | instid1(VALU_DEP_1)
	v_lshl_add_u32 v7, v6, 5, v7
	v_ashrrev_i32_e32 v7, 5, v7
	s_delay_alu instid0(VALU_DEP_1)
	v_dual_lshlrev_b32 v9, 2, v7 :: v_dual_add_nc_u32 v10, 1, v7
	ds_load_b32 v9, v9 offset:1024
	s_wait_dscnt 0x0
	v_cmp_lt_i32_e32 vcc_lo, v9, v4
	v_cndmask_b32_e32 v2, v2, v10, vcc_lo
	v_cndmask_b32_e32 v6, v7, v6, vcc_lo
	s_or_b32 exec_lo, exec_lo, s0
	s_delay_alu instid0(SALU_CYCLE_1) | instskip(NEXT) | instid1(VALU_DEP_1)
	s_mov_b32 s0, exec_lo
	v_cmpx_lt_i32_e64 v2, v6
	s_cbranch_execz .LBB23_267
.LBB23_276:
	v_sub_nc_u32_e32 v7, v2, v6
	s_delay_alu instid0(VALU_DEP_1) | instskip(NEXT) | instid1(VALU_DEP_1)
	v_lshl_add_u32 v7, v6, 4, v7
	v_ashrrev_i32_e32 v7, 4, v7
	s_delay_alu instid0(VALU_DEP_1)
	v_dual_lshlrev_b32 v9, 2, v7 :: v_dual_add_nc_u32 v10, 1, v7
	ds_load_b32 v9, v9 offset:1024
	s_wait_dscnt 0x0
	v_cmp_lt_i32_e32 vcc_lo, v9, v4
	v_cndmask_b32_e32 v2, v2, v10, vcc_lo
	v_cndmask_b32_e32 v6, v7, v6, vcc_lo
	s_or_b32 exec_lo, exec_lo, s0
	s_delay_alu instid0(SALU_CYCLE_1) | instskip(NEXT) | instid1(VALU_DEP_1)
	s_mov_b32 s0, exec_lo
	v_cmpx_lt_i32_e64 v2, v6
	s_cbranch_execz .LBB23_280
.LBB23_277:
	s_mov_b32 s3, 0
.LBB23_278:                             ; =>This Inner Loop Header: Depth=1
	v_sub_nc_u32_e32 v7, v2, v6
	s_delay_alu instid0(VALU_DEP_1) | instskip(NEXT) | instid1(VALU_DEP_1)
	v_lshl_add_u32 v7, v6, 1, v7
	v_ashrrev_i32_e32 v7, 1, v7
	s_delay_alu instid0(VALU_DEP_1)
	v_dual_lshlrev_b32 v9, 2, v7 :: v_dual_add_nc_u32 v10, 1, v7
	ds_load_b32 v9, v9 offset:1024
	s_wait_dscnt 0x0
	v_cmp_lt_i32_e32 vcc_lo, v9, v4
	v_cndmask_b32_e32 v2, v2, v10, vcc_lo
	v_cndmask_b32_e32 v6, v7, v6, vcc_lo
	s_delay_alu instid0(VALU_DEP_1) | instskip(SKIP_1) | instid1(SALU_CYCLE_1)
	v_cmp_ge_i32_e32 vcc_lo, v2, v6
	s_or_b32 s3, vcc_lo, s3
	s_and_not1_b32 exec_lo, exec_lo, s3
	s_cbranch_execnz .LBB23_278
; %bb.279:
	s_or_b32 exec_lo, exec_lo, s3
.LBB23_280:
	s_delay_alu instid0(SALU_CYCLE_1)
	s_or_b32 exec_lo, exec_lo, s0
	v_dual_mov_b32 v6, 0 :: v_dual_mov_b32 v7, v5
	s_mov_b32 s0, exec_lo
	v_cmpx_lt_i32_e32 0, v5
	s_cbranch_execnz .LBB23_285
; %bb.281:
	s_or_b32 exec_lo, exec_lo, s0
	s_delay_alu instid0(SALU_CYCLE_1)
	s_mov_b32 s0, exec_lo
	v_cmpx_lt_i32_e64 v6, v7
	s_cbranch_execnz .LBB23_286
.LBB23_282:
	s_or_b32 exec_lo, exec_lo, s0
	s_delay_alu instid0(SALU_CYCLE_1)
	s_mov_b32 s0, exec_lo
	v_cmpx_lt_i32_e64 v6, v7
	s_cbranch_execnz .LBB23_287
.LBB23_283:
	s_or_b32 exec_lo, exec_lo, s0
	s_delay_alu instid0(SALU_CYCLE_1)
	s_mov_b32 s0, exec_lo
	v_cmpx_lt_i32_e64 v6, v7
	s_cbranch_execnz .LBB23_288
.LBB23_284:
	s_or_b32 exec_lo, exec_lo, s0
	s_delay_alu instid0(SALU_CYCLE_1)
	s_mov_b32 s0, exec_lo
	v_cmpx_lt_i32_e64 v6, v7
	s_cbranch_execnz .LBB23_289
	s_branch .LBB23_292
.LBB23_285:
	v_mul_lo_u32 v6, 0x1ff, v5
	s_delay_alu instid0(VALU_DEP_1) | instskip(NEXT) | instid1(VALU_DEP_1)
	v_lshrrev_b32_e32 v7, 9, v6
	v_lshl_add_u32 v6, v7, 2, s1
	ds_load_b32 v6, v6 offset:1024
	s_wait_dscnt 0x0
	v_cmp_lt_i32_e32 vcc_lo, v6, v4
	v_add_nc_u32_e32 v9, 1, v7
	s_delay_alu instid0(VALU_DEP_1) | instskip(SKIP_2) | instid1(SALU_CYCLE_1)
	v_cndmask_b32_e32 v6, 0, v9, vcc_lo
	v_cndmask_b32_e32 v7, v7, v5, vcc_lo
	s_or_b32 exec_lo, exec_lo, s0
	s_mov_b32 s0, exec_lo
	s_delay_alu instid0(VALU_DEP_1)
	v_cmpx_lt_i32_e64 v6, v7
	s_cbranch_execz .LBB23_282
.LBB23_286:
	v_sub_nc_u32_e32 v9, v6, v7
	s_delay_alu instid0(VALU_DEP_1) | instskip(NEXT) | instid1(VALU_DEP_1)
	v_lshl_add_u32 v9, v7, 7, v9
	v_ashrrev_i32_e32 v9, 7, v9
	s_delay_alu instid0(VALU_DEP_1) | instskip(SKIP_4) | instid1(VALU_DEP_1)
	v_lshl_add_u32 v10, v9, 2, s1
	ds_load_b32 v10, v10 offset:1024
	s_wait_dscnt 0x0
	v_cmp_lt_i32_e32 vcc_lo, v10, v4
	v_add_nc_u32_e32 v11, 1, v9
	v_cndmask_b32_e32 v6, v6, v11, vcc_lo
	v_cndmask_b32_e32 v7, v9, v7, vcc_lo
	s_or_b32 exec_lo, exec_lo, s0
	s_delay_alu instid0(SALU_CYCLE_1) | instskip(NEXT) | instid1(VALU_DEP_1)
	s_mov_b32 s0, exec_lo
	v_cmpx_lt_i32_e64 v6, v7
	s_cbranch_execz .LBB23_283
.LBB23_287:
	v_sub_nc_u32_e32 v9, v6, v7
	s_delay_alu instid0(VALU_DEP_1) | instskip(NEXT) | instid1(VALU_DEP_1)
	v_lshl_add_u32 v9, v7, 5, v9
	v_ashrrev_i32_e32 v9, 5, v9
	s_delay_alu instid0(VALU_DEP_1) | instskip(SKIP_4) | instid1(VALU_DEP_1)
	v_lshl_add_u32 v10, v9, 2, s1
	ds_load_b32 v10, v10 offset:1024
	s_wait_dscnt 0x0
	v_cmp_lt_i32_e32 vcc_lo, v10, v4
	v_add_nc_u32_e32 v11, 1, v9
	v_cndmask_b32_e32 v6, v6, v11, vcc_lo
	v_cndmask_b32_e32 v7, v9, v7, vcc_lo
	s_or_b32 exec_lo, exec_lo, s0
	s_delay_alu instid0(SALU_CYCLE_1) | instskip(NEXT) | instid1(VALU_DEP_1)
	s_mov_b32 s0, exec_lo
	v_cmpx_lt_i32_e64 v6, v7
	s_cbranch_execz .LBB23_284
.LBB23_288:
	v_sub_nc_u32_e32 v9, v6, v7
	s_delay_alu instid0(VALU_DEP_1) | instskip(NEXT) | instid1(VALU_DEP_1)
	v_lshl_add_u32 v9, v7, 4, v9
	v_ashrrev_i32_e32 v9, 4, v9
	s_delay_alu instid0(VALU_DEP_1) | instskip(SKIP_4) | instid1(VALU_DEP_1)
	v_lshl_add_u32 v10, v9, 2, s1
	ds_load_b32 v10, v10 offset:1024
	s_wait_dscnt 0x0
	v_cmp_lt_i32_e32 vcc_lo, v10, v4
	v_add_nc_u32_e32 v11, 1, v9
	v_cndmask_b32_e32 v6, v6, v11, vcc_lo
	v_cndmask_b32_e32 v7, v9, v7, vcc_lo
	s_or_b32 exec_lo, exec_lo, s0
	s_delay_alu instid0(SALU_CYCLE_1) | instskip(NEXT) | instid1(VALU_DEP_1)
	s_mov_b32 s0, exec_lo
	v_cmpx_lt_i32_e64 v6, v7
	s_cbranch_execz .LBB23_292
.LBB23_289:
	s_mov_b32 s3, 0
.LBB23_290:                             ; =>This Inner Loop Header: Depth=1
	v_sub_nc_u32_e32 v9, v6, v7
	s_delay_alu instid0(VALU_DEP_1) | instskip(NEXT) | instid1(VALU_DEP_1)
	v_lshl_add_u32 v9, v7, 1, v9
	v_ashrrev_i32_e32 v9, 1, v9
	s_delay_alu instid0(VALU_DEP_1) | instskip(SKIP_4) | instid1(VALU_DEP_1)
	v_lshl_add_u32 v10, v9, 2, s1
	ds_load_b32 v10, v10 offset:1024
	s_wait_dscnt 0x0
	v_cmp_lt_i32_e32 vcc_lo, v10, v4
	v_add_nc_u32_e32 v11, 1, v9
	v_cndmask_b32_e32 v6, v6, v11, vcc_lo
	v_cndmask_b32_e32 v7, v9, v7, vcc_lo
	s_delay_alu instid0(VALU_DEP_1) | instskip(SKIP_1) | instid1(SALU_CYCLE_1)
	v_cmp_ge_i32_e32 vcc_lo, v6, v7
	s_or_b32 s3, vcc_lo, s3
	s_and_not1_b32 exec_lo, exec_lo, s3
	s_cbranch_execnz .LBB23_290
; %bb.291:
	s_or_b32 exec_lo, exec_lo, s3
.LBB23_292:
	s_delay_alu instid0(SALU_CYCLE_1) | instskip(SKIP_3) | instid1(VALU_DEP_1)
	s_or_b32 exec_lo, exec_lo, s0
	v_sub_nc_u32_e32 v0, v0, v2
	v_sub_nc_u32_e32 v9, v5, v6
	s_mov_b32 s0, exec_lo
	v_add_nc_u32_e32 v7, v9, v0
	s_delay_alu instid0(VALU_DEP_1) | instskip(NEXT) | instid1(VALU_DEP_1)
	v_ashrrev_i32_e32 v0, 1, v7
	v_max_i32_e32 v0, v0, v9
	s_delay_alu instid0(VALU_DEP_1) | instskip(NEXT) | instid1(VALU_DEP_1)
	v_add_nc_u32_e32 v6, v6, v0
	v_add_min_i32_e64 v6, v6, 1, v26
	s_delay_alu instid0(VALU_DEP_1) | instskip(NEXT) | instid1(VALU_DEP_1)
	v_dual_mov_b32 v5, 0 :: v_dual_sub_nc_u32 v6, v6, v5
	v_cmpx_lt_i32_e32 0, v6
	s_cbranch_execz .LBB23_296
; %bb.293:
	v_mov_b32_e32 v5, 0
	s_mov_b32 s3, 0
.LBB23_294:                             ; =>This Inner Loop Header: Depth=1
	s_delay_alu instid0(VALU_DEP_1) | instskip(NEXT) | instid1(VALU_DEP_1)
	v_add_nc_u32_e32 v10, v5, v6
	v_lshrrev_b32_e32 v10, 1, v10
	s_delay_alu instid0(VALU_DEP_1) | instskip(SKIP_4) | instid1(VALU_DEP_1)
	v_lshl_add_u32 v11, v10, 2, v3
	ds_load_b32 v11, v11 offset:1024
	s_wait_dscnt 0x0
	v_cmp_lt_i32_e32 vcc_lo, v4, v11
	v_dual_add_nc_u32 v12, 1, v10 :: v_dual_cndmask_b32 v6, v6, v10, vcc_lo
	v_cndmask_b32_e32 v5, v12, v5, vcc_lo
	s_delay_alu instid0(VALU_DEP_1) | instskip(SKIP_1) | instid1(SALU_CYCLE_1)
	v_cmp_ge_i32_e32 vcc_lo, v5, v6
	s_or_b32 s3, vcc_lo, s3
	s_and_not1_b32 exec_lo, exec_lo, s3
	s_cbranch_execnz .LBB23_294
; %bb.295:
	s_or_b32 exec_lo, exec_lo, s3
.LBB23_296:
	s_delay_alu instid0(SALU_CYCLE_1) | instskip(NEXT) | instid1(VALU_DEP_2)
	s_or_b32 exec_lo, exec_lo, s0
	v_add_nc_u32_e32 v3, v5, v9
	s_wait_dscnt 0x0
	s_delay_alu instid0(VALU_DEP_1) | instskip(NEXT) | instid1(VALU_DEP_1)
	v_min_i32_e32 v4, v3, v0
	v_sub_nc_u32_e32 v5, v7, v4
	v_cmp_lt_i32_e32 vcc_lo, v0, v3
	s_delay_alu instid0(VALU_DEP_2) | instskip(NEXT) | instid1(VALU_DEP_1)
	v_dual_add_nc_u32 v0, v5, v2 :: v_dual_add_nc_u32 v4, 1, v4
	v_cmp_eq_u32_e64 s0, v5, v4
	s_and_b32 s0, vcc_lo, s0
	s_delay_alu instid0(SALU_CYCLE_1)
	v_cndmask_b32_e64 v3, 0, 1, s0
.LBB23_297:
	s_or_b32 exec_lo, exec_lo, s2
	s_lshl_b32 s0, s30, 16
	s_delay_alu instid0(VALU_DEP_1) | instid1(SALU_CYCLE_1)
	v_dual_add_nc_u32 v1, v3, v1 :: v_dual_bitop2_b32 v2, s0, v26 bitop3:0x54
	v_sub_co_u32 v4, s0, v16, 1
	s_delay_alu instid0(VALU_DEP_2) | instskip(NEXT) | instid1(VALU_DEP_1)
	v_sub_nc_u32_e32 v1, v1, v0
	v_lshl_or_b32 v3, v0, 16, v1
	s_delay_alu instid0(VALU_DEP_1) | instskip(NEXT) | instid1(VALU_DEP_4)
	v_cndmask_b32_e64 v2, v3, v2, s0
	v_cndmask_b32_e64 v3, v4, 0xff, s0
	v_lshl_add_u32 v6, v1, 2, s1
	s_mov_b32 s1, exec_lo
	s_delay_alu instid0(VALU_DEP_2)
	v_dual_lshlrev_b32 v4, 2, v0 :: v_dual_lshlrev_b32 v3, 2, v3
	ds_store_b32 v3, v2
	s_wait_dscnt 0x0
	s_barrier_signal -1
	s_barrier_wait -1
	ds_load_b32 v25, v4 offset:1024
	ds_load_b32 v2, v6 offset:1024
	ds_load_b32 v13, v8
	s_wait_dscnt 0x2
	v_dual_mov_b32 v3, v0 :: v_dual_mov_b32 v9, v25
	s_wait_dscnt 0x1
	v_cmpx_ge_i32_e64 v2, v25
; %bb.298:
	ds_load_b32 v9, v4 offset:1028
	v_add_nc_u32_e32 v3, 1, v0
; %bb.299:
	s_or_b32 exec_lo, exec_lo, s1
	v_dual_mov_b32 v5, v2 :: v_dual_add_nc_u32 v4, s30, v1
	s_mov_b32 s1, exec_lo
	v_cmpx_ge_i32_e64 v25, v2
; %bb.300:
	ds_load_b32 v5, v6 offset:1028
	v_add_nc_u32_e32 v4, 1, v4
; %bb.301:
	s_or_b32 exec_lo, exec_lo, s1
	s_wait_dscnt 0x0
	v_dual_mov_b32 v26, v9 :: v_dual_mov_b32 v6, v3
	s_mov_b32 s1, exec_lo
	v_cmpx_ge_i32_e64 v5, v9
; %bb.302:
	v_lshlrev_b32_e32 v6, 2, v3
	ds_load_b32 v26, v6 offset:1028
	v_add_nc_u32_e32 v6, 1, v3
; %bb.303:
	s_or_b32 exec_lo, exec_lo, s1
	v_dual_mov_b32 v7, v5 :: v_dual_mov_b32 v10, v4
	s_mov_b32 s1, exec_lo
	v_cmpx_ge_i32_e64 v9, v5
; %bb.304:
	v_dual_lshlrev_b32 v7, 2, v4 :: v_dual_add_nc_u32 v10, 1, v4
	ds_load_b32 v7, v7 offset:1028
; %bb.305:
	s_or_b32 exec_lo, exec_lo, s1
	s_wait_dscnt 0x0
	v_dual_mov_b32 v27, v26 :: v_dual_mov_b32 v11, v6
	s_mov_b32 s1, exec_lo
	v_cmpx_ge_i32_e64 v7, v26
; %bb.306:
	v_lshlrev_b32_e32 v11, 2, v6
	ds_load_b32 v27, v11 offset:1028
	v_add_nc_u32_e32 v11, 1, v6
; %bb.307:
	s_or_b32 exec_lo, exec_lo, s1
	v_dual_mov_b32 v12, v7 :: v_dual_mov_b32 v14, v10
	s_mov_b32 s1, exec_lo
	v_cmpx_ge_i32_e64 v26, v7
; %bb.308:
	v_dual_lshlrev_b32 v12, 2, v10 :: v_dual_add_nc_u32 v14, 1, v10
	ds_load_b32 v12, v12 offset:1028
	;; [unrolled: 18-line block ×5, first 2 shown]
; %bb.321:
	s_or_b32 exec_lo, exec_lo, s1
	s_wait_dscnt 0x0
	v_dual_mov_b32 v31, v30 :: v_dual_mov_b32 v42, v23
	s_mov_b32 s1, exec_lo
	v_cmpx_ge_i32_e64 v40, v30
; %bb.322:
	v_dual_lshlrev_b32 v31, 2, v23 :: v_dual_add_nc_u32 v42, 1, v23
	ds_load_b32 v31, v31 offset:1028
; %bb.323:
	s_or_b32 exec_lo, exec_lo, s1
	v_dual_mov_b32 v44, v40 :: v_dual_mov_b32 v43, v41
	s_mov_b32 s1, exec_lo
	v_cmpx_ge_i32_e64 v30, v40
; %bb.324:
	v_dual_lshlrev_b32 v32, 2, v41 :: v_dual_add_nc_u32 v43, 1, v41
	ds_load_b32 v44, v32 offset:1028
; %bb.325:
	s_or_b32 exec_lo, exec_lo, s1
	s_wait_dscnt 0x0
	v_dual_mov_b32 v32, v31 :: v_dual_mov_b32 v45, v42
	s_mov_b32 s1, exec_lo
	v_cmpx_ge_i32_e64 v44, v31
; %bb.326:
	v_dual_lshlrev_b32 v32, 2, v42 :: v_dual_add_nc_u32 v45, 1, v42
	ds_load_b32 v32, v32 offset:1028
; %bb.327:
	s_or_b32 exec_lo, exec_lo, s1
	v_dual_mov_b32 v46, v44 :: v_dual_mov_b32 v47, v43
	s_mov_b32 s1, exec_lo
	v_cmpx_ge_i32_e64 v31, v44
; %bb.328:
	v_dual_lshlrev_b32 v33, 2, v43 :: v_dual_add_nc_u32 v47, 1, v43
	ds_load_b32 v46, v33 offset:1028
; %bb.329:
	s_or_b32 exec_lo, exec_lo, s1
	s_wait_dscnt 0x0
	v_dual_mov_b32 v33, v32 :: v_dual_mov_b32 v48, v45
	s_mov_b32 s1, exec_lo
	v_cmpx_ge_i32_e64 v46, v32
; %bb.330:
	v_dual_lshlrev_b32 v33, 2, v45 :: v_dual_add_nc_u32 v48, 1, v45
	ds_load_b32 v33, v33 offset:1028
; %bb.331:
	s_or_b32 exec_lo, exec_lo, s1
	v_dual_mov_b32 v49, v46 :: v_dual_mov_b32 v50, v47
	s_mov_b32 s1, exec_lo
	v_cmpx_ge_i32_e64 v32, v46
; %bb.332:
	v_dual_lshlrev_b32 v34, 2, v47 :: v_dual_add_nc_u32 v50, 1, v47
	ds_load_b32 v49, v34 offset:1028
; %bb.333:
	s_or_b32 exec_lo, exec_lo, s1
	s_wait_dscnt 0x0
	v_dual_mov_b32 v34, v33 :: v_dual_mov_b32 v51, v48
	s_mov_b32 s1, exec_lo
	v_cmpx_ge_i32_e64 v49, v33
; %bb.334:
	v_dual_lshlrev_b32 v34, 2, v48 :: v_dual_add_nc_u32 v51, 1, v48
	ds_load_b32 v34, v34 offset:1028
; %bb.335:
	s_or_b32 exec_lo, exec_lo, s1
	v_dual_mov_b32 v52, v49 :: v_dual_mov_b32 v53, v50
	s_mov_b32 s1, exec_lo
	v_cmpx_ge_i32_e64 v33, v49
; %bb.336:
	v_dual_lshlrev_b32 v35, 2, v50 :: v_dual_add_nc_u32 v53, 1, v50
	ds_load_b32 v52, v35 offset:1028
; %bb.337:
	s_or_b32 exec_lo, exec_lo, s1
	s_wait_dscnt 0x0
	v_dual_mov_b32 v35, v34 :: v_dual_mov_b32 v54, v51
	s_mov_b32 s1, exec_lo
	v_cmpx_ge_i32_e64 v52, v34
; %bb.338:
	v_dual_lshlrev_b32 v35, 2, v51 :: v_dual_add_nc_u32 v54, 1, v51
	ds_load_b32 v35, v35 offset:1028
; %bb.339:
	s_or_b32 exec_lo, exec_lo, s1
	v_dual_mov_b32 v55, v52 :: v_dual_mov_b32 v56, v53
	s_mov_b32 s1, exec_lo
	v_cmpx_ge_i32_e64 v34, v52
; %bb.340:
	v_dual_lshlrev_b32 v36, 2, v53 :: v_dual_add_nc_u32 v56, 1, v53
	ds_load_b32 v55, v36 offset:1028
; %bb.341:
	s_or_b32 exec_lo, exec_lo, s1
	s_wait_dscnt 0x0
	v_dual_mov_b32 v36, v35 :: v_dual_mov_b32 v57, v54
	s_mov_b32 s1, exec_lo
	v_cmpx_ge_i32_e64 v55, v35
; %bb.342:
	v_dual_lshlrev_b32 v36, 2, v54 :: v_dual_add_nc_u32 v57, 1, v54
	ds_load_b32 v36, v36 offset:1028
; %bb.343:
	s_or_b32 exec_lo, exec_lo, s1
	v_dual_mov_b32 v58, v55 :: v_dual_mov_b32 v59, v56
	s_mov_b32 s1, exec_lo
	v_cmpx_ge_i32_e64 v35, v55
; %bb.344:
	v_dual_lshlrev_b32 v37, 2, v56 :: v_dual_add_nc_u32 v59, 1, v56
	ds_load_b32 v58, v37 offset:1028
; %bb.345:
	s_or_b32 exec_lo, exec_lo, s1
	s_wait_dscnt 0x0
	v_dual_mov_b32 v37, v36 :: v_dual_mov_b32 v60, v57
	s_mov_b32 s1, exec_lo
	v_cmpx_ge_i32_e64 v58, v36
; %bb.346:
	v_dual_lshlrev_b32 v37, 2, v57 :: v_dual_add_nc_u32 v60, 1, v57
	ds_load_b32 v37, v37 offset:1028
; %bb.347:
	s_or_b32 exec_lo, exec_lo, s1
	v_dual_mov_b32 v62, v58 :: v_dual_mov_b32 v61, v59
	s_mov_b32 s1, exec_lo
	v_cmpx_ge_i32_e64 v36, v58
; %bb.348:
	v_dual_lshlrev_b32 v38, 2, v59 :: v_dual_add_nc_u32 v61, 1, v59
	ds_load_b32 v62, v38 offset:1028
; %bb.349:
	s_or_b32 exec_lo, exec_lo, s1
	s_wait_dscnt 0x0
	v_dual_mov_b32 v38, v37 :: v_dual_mov_b32 v63, v60
	s_mov_b32 s1, exec_lo
	v_cmpx_ge_i32_e64 v62, v37
; %bb.350:
	v_dual_lshlrev_b32 v38, 2, v60 :: v_dual_add_nc_u32 v63, 1, v60
	ds_load_b32 v38, v38 offset:1028
; %bb.351:
	s_or_b32 exec_lo, exec_lo, s1
	v_dual_mov_b32 v65, v62 :: v_dual_mov_b32 v64, v61
	s_mov_b32 s1, exec_lo
	v_cmpx_ge_i32_e64 v37, v62
; %bb.352:
	v_dual_lshlrev_b32 v39, 2, v61 :: v_dual_add_nc_u32 v64, 1, v61
	ds_load_b32 v65, v39 offset:1028
; %bb.353:
	s_or_b32 exec_lo, exec_lo, s1
	s_wait_dscnt 0x0
	v_dual_mov_b32 v39, v38 :: v_dual_mov_b32 v66, v63
	s_mov_b32 s1, exec_lo
	v_cmpx_ge_i32_e64 v65, v38
; %bb.354:
	v_dual_lshlrev_b32 v39, 2, v63 :: v_dual_add_nc_u32 v66, 1, v63
	ds_load_b32 v39, v39 offset:1028
; %bb.355:
	s_or_b32 exec_lo, exec_lo, s1
	v_dual_mov_b32 v68, v65 :: v_dual_mov_b32 v67, v64
	s_mov_b32 s1, exec_lo
	v_cmpx_ge_i32_e64 v38, v65
; %bb.356:
	v_lshlrev_b32_e32 v67, 2, v64
	ds_load_b32 v68, v67 offset:1028
	v_add_nc_u32_e32 v67, 1, v64
; %bb.357:
	s_or_b32 exec_lo, exec_lo, s1
	v_and_b32_e32 v69, 0xffff, v13
	v_ashrrev_i32_e32 v13, 16, v13
	v_cmp_ne_u32_e64 s1, v65, v38
	v_cmp_ne_u32_e64 s17, v40, v30
	;; [unrolled: 1-line block ×3, first 2 shown]
	v_add_nc_u32_e32 v65, s30, v69
	v_cmp_ge_i32_e64 s18, v11, v13
	v_mov_b32_e32 v11, 0
	v_cmp_ge_i32_e64 s14, v20, v13
	v_cmp_ge_i32_e64 s20, v6, v13
	;; [unrolled: 1-line block ×5, first 2 shown]
	v_cmp_gt_i32_e64 s22, v69, v1
	v_cmp_ge_i32_e64 s12, v23, v13
	s_or_b32 s38, s14, s15
	v_cmp_ge_i32_e64 s14, v15, v13
	v_cmp_ge_i32_e64 s15, v19, v65
	s_or_b32 s40, s18, s19
	s_or_b32 s26, s20, s21
	v_cmp_ge_i32_e64 s19, v3, v13
	v_cmp_ge_i32_e64 s20, v4, v65
	s_or_b32 s39, s14, s15
	v_cmp_ne_u32_e64 s15, v7, v26
	v_cmp_gt_i32_e64 s21, v13, v0
	v_cmp_ge_i32_e64 s13, v41, v65
	v_cmp_ne_u32_e64 s18, v5, v9
	s_or_b32 s19, s19, s20
	s_or_b32 s26, s15, s26
	v_cmp_eq_u32_e64 s15, v2, v25
	s_and_b32 s20, s21, s22
	v_cmp_ge_i32_e64 s4, v63, v13
	v_cmp_ge_i32_e64 s5, v60, v13
	v_cmp_ge_i32_e64 s7, v64, v65
	v_cmp_ge_i32_e64 s8, v61, v65
	v_cmp_ge_i32_e64 s9, v57, v13
	v_cmp_ge_i32_e64 s10, v59, v65
	s_or_b32 s37, s12, s13
	v_cmp_ne_u32_e64 s13, v18, v28
	v_cmp_ne_u32_e64 s14, v12, v27
	s_or_b32 s18, s18, s19
	s_and_b32 s15, s20, s15
	v_cndmask_b32_e64 v0, 4, 0, s26
	v_cndmask_b32_e64 v1, 2, 0, s18
	;; [unrolled: 1-line block ×3, first 2 shown]
	v_cmp_ge_i32_e64 s3, v66, v13
	v_cmp_ge_i32_e64 s6, v67, v65
	s_or_b32 s30, s4, s7
	s_or_b32 s31, s5, s8
	;; [unrolled: 1-line block ×3, first 2 shown]
	v_cmp_ge_i32_e64 s7, v51, v13
	v_cmp_ge_i32_e64 s8, v53, v65
	;; [unrolled: 1-line block ×4, first 2 shown]
	v_cmp_ne_u32_e64 s12, v21, v29
	s_or_b32 s13, s13, s39
	s_or_b32 s14, s14, s40
	v_cndmask_b32_e64 v3, 16, 0, s13
	v_cndmask_b32_e64 v4, 8, 0, s14
	v_or3_b32 v0, v1, v2, v0
	s_or_b32 s27, s3, s6
	v_cmp_ge_i32_e64 s5, v54, v13
	v_cmp_ge_i32_e64 s6, v56, v65
	;; [unrolled: 1-line block ×4, first 2 shown]
	s_or_b32 s35, s7, s8
	s_or_b32 s36, s9, s10
	v_cmp_ge_i32_e64 s8, v45, v13
	v_cmp_ge_i32_e64 s9, v47, v65
	v_cmp_ne_u32_e64 s10, v44, v31
	s_or_b32 s17, s17, s37
	s_or_b32 s12, s12, s38
	v_cndmask_b32_e64 v1, 64, 0, s17
	v_cndmask_b32_e64 v2, 32, 0, s12
	v_or3_b32 v0, v0, v4, v3
	s_or_b32 s34, s5, s6
	v_cmp_ne_u32_e64 s6, v49, v33
	s_or_b32 s11, s11, s16
	v_cmp_ne_u32_e64 s7, v46, v32
	s_or_b32 s8, s8, s9
	s_or_b32 s9, s10, s11
	v_or3_b32 v45, v0, v2, v1
	v_cndmask_b32_e64 v3, 0x80, 0, s9
	v_cmp_ne_u32_e64 s4, v55, v35
	s_or_b32 s6, s6, s36
	v_cmp_ne_u32_e64 s5, v52, v34
	v_cndmask_b32_e64 v0, 0x200, 0, s6
	s_or_b32 s6, s7, s8
	v_or_b32_e32 v44, v3, v45
	v_cndmask_b32_e64 v1, 0x100, 0, s6
	s_or_b32 s4, s4, s34
	v_cmp_ne_u32_e64 s3, v58, v36
	v_cndmask_b32_e64 v2, 0x800, 0, s4
	s_or_b32 s4, s5, s35
	v_or3_b32 v43, v1, v0, v44
	v_cndmask_b32_e64 v3, 0x400, 0, s4
	s_or_b32 s2, s2, s31
	s_wait_dscnt 0x0
	v_cmp_ne_u32_e32 vcc_lo, v68, v39
	v_cndmask_b32_e64 v0, 0x2000, 0, s2
	s_or_b32 s2, s3, s33
	v_or3_b32 v42, v3, v2, v43
	v_cndmask_b32_e64 v1, 0x1000, 0, s2
	s_or_b32 s2, vcc_lo, s27
	s_or_b32 s1, s1, s30
	v_cndmask_b32_e64 v2, 0x8000, 0, s2
	v_cndmask_b32_e64 v3, 0x4000, 0, s1
	v_or3_b32 v41, v1, v0, v42
	v_mbcnt_lo_u32_b32 v46, -1, 0
	s_mov_b32 s1, -1
	s_cmp_lg_u32 s23, 0
	s_delay_alu instid0(VALU_DEP_2) | instskip(SKIP_2) | instid1(VALU_DEP_1)
	v_or3_b32 v40, v3, v2, v41
	s_barrier_signal -1
	s_barrier_wait -1
	v_bcnt_u32_b32 v10, v40, 0
	s_cbranch_scc0 .LBB23_414
; %bb.358:
	s_delay_alu instid0(VALU_DEP_1)
	v_mov_b64_e32 v[2:3], v[10:11]
	v_dual_mov_b32 v0, v10 :: v_dual_bitop2_b32 v12, 15, v46 bitop3:0x40
	v_mov_b32_dpp v4, v10 row_shr:1 row_mask:0xf bank_mask:0xf
	v_mov_b32_dpp v7, v11 row_shr:1 row_mask:0xf bank_mask:0xf
	v_mov_b32_e32 v5, v11
	s_mov_b32 s1, exec_lo
	v_cmpx_ne_u32_e32 0, v12
; %bb.359:
	v_mov_b32_e32 v6, 0
	s_delay_alu instid0(VALU_DEP_1) | instskip(NEXT) | instid1(VALU_DEP_1)
	v_mov_b32_e32 v5, v6
	v_add_nc_u64_e32 v[0:1], v[4:5], v[10:11]
	s_delay_alu instid0(VALU_DEP_1) | instskip(NEXT) | instid1(VALU_DEP_1)
	v_add_nc_u64_e32 v[4:5], v[6:7], v[0:1]
	v_mov_b64_e32 v[2:3], v[4:5]
; %bb.360:
	s_or_b32 exec_lo, exec_lo, s1
	v_mov_b32_dpp v4, v0 row_shr:2 row_mask:0xf bank_mask:0xf
	v_mov_b32_dpp v7, v5 row_shr:2 row_mask:0xf bank_mask:0xf
	s_mov_b32 s1, exec_lo
	v_cmpx_lt_u32_e32 1, v12
; %bb.361:
	v_mov_b32_e32 v6, 0
	s_delay_alu instid0(VALU_DEP_1) | instskip(NEXT) | instid1(VALU_DEP_1)
	v_mov_b32_e32 v5, v6
	v_add_nc_u64_e32 v[0:1], v[2:3], v[4:5]
	s_delay_alu instid0(VALU_DEP_1) | instskip(NEXT) | instid1(VALU_DEP_1)
	v_add_nc_u64_e32 v[4:5], v[6:7], v[0:1]
	v_mov_b64_e32 v[2:3], v[4:5]
; %bb.362:
	s_or_b32 exec_lo, exec_lo, s1
	v_mov_b32_dpp v4, v0 row_shr:4 row_mask:0xf bank_mask:0xf
	v_mov_b32_dpp v7, v5 row_shr:4 row_mask:0xf bank_mask:0xf
	s_mov_b32 s1, exec_lo
	v_cmpx_lt_u32_e32 3, v12
	;; [unrolled: 14-line block ×3, first 2 shown]
; %bb.365:
	v_mov_b32_e32 v6, 0
	s_delay_alu instid0(VALU_DEP_1) | instskip(NEXT) | instid1(VALU_DEP_1)
	v_mov_b32_e32 v5, v6
	v_add_nc_u64_e32 v[0:1], v[2:3], v[4:5]
	s_delay_alu instid0(VALU_DEP_1) | instskip(NEXT) | instid1(VALU_DEP_1)
	v_add_nc_u64_e32 v[2:3], v[6:7], v[0:1]
	v_mov_b32_e32 v5, v3
; %bb.366:
	s_or_b32 exec_lo, exec_lo, s1
	ds_swizzle_b32 v4, v0 offset:swizzle(BROADCAST,32,15)
	ds_swizzle_b32 v7, v5 offset:swizzle(BROADCAST,32,15)
	v_and_b32_e32 v1, 16, v46
	s_mov_b32 s1, exec_lo
	s_delay_alu instid0(VALU_DEP_1)
	v_cmpx_ne_u32_e32 0, v1
	s_cbranch_execz .LBB23_368
; %bb.367:
	v_mov_b32_e32 v6, 0
	s_delay_alu instid0(VALU_DEP_1) | instskip(SKIP_1) | instid1(VALU_DEP_1)
	v_mov_b32_e32 v5, v6
	s_wait_dscnt 0x1
	v_add_nc_u64_e32 v[0:1], v[2:3], v[4:5]
	s_wait_dscnt 0x0
	s_delay_alu instid0(VALU_DEP_1)
	v_add_nc_u64_e32 v[2:3], v[6:7], v[0:1]
.LBB23_368:
	s_or_b32 exec_lo, exec_lo, s1
	v_and_b32_e32 v1, 0x3e0, v16
	s_mov_b32 s1, exec_lo
	s_delay_alu instid0(VALU_DEP_1) | instskip(SKIP_1) | instid1(VALU_DEP_1)
	v_min_u32_e32 v1, 0xe0, v1
	s_wait_dscnt 0x1
	v_dual_lshrrev_b32 v1, 5, v16 :: v_dual_bitop2_b32 v4, 31, v1 bitop3:0x54
	s_delay_alu instid0(VALU_DEP_1)
	v_cmpx_eq_u32_e64 v16, v4
; %bb.369:
	s_delay_alu instid0(VALU_DEP_2)
	v_lshlrev_b32_e32 v4, 3, v1
	ds_store_b64 v4, v[2:3]
; %bb.370:
	s_or_b32 exec_lo, exec_lo, s1
	s_delay_alu instid0(SALU_CYCLE_1)
	s_mov_b32 s1, exec_lo
	s_wait_dscnt 0x0
	s_barrier_signal -1
	s_barrier_wait -1
	v_cmpx_gt_u32_e32 8, v16
	s_cbranch_execz .LBB23_378
; %bb.371:
	v_dual_lshlrev_b32 v14, 3, v16 :: v_dual_bitop2_b32 v15, 7, v46 bitop3:0x40
	s_mov_b32 s2, exec_lo
	ds_load_b64 v[2:3], v14
	s_wait_dscnt 0x0
	v_mov_b32_dpp v6, v2 row_shr:1 row_mask:0xf bank_mask:0xf
	v_mov_b32_dpp v13, v3 row_shr:1 row_mask:0xf bank_mask:0xf
	v_mov_b32_e32 v4, v2
	v_cmpx_ne_u32_e32 0, v15
; %bb.372:
	v_mov_b32_e32 v12, 0
	s_delay_alu instid0(VALU_DEP_1) | instskip(NEXT) | instid1(VALU_DEP_1)
	v_mov_b32_e32 v7, v12
	v_add_nc_u64_e32 v[4:5], v[2:3], v[6:7]
	s_delay_alu instid0(VALU_DEP_1)
	v_add_nc_u64_e32 v[2:3], v[12:13], v[4:5]
; %bb.373:
	s_or_b32 exec_lo, exec_lo, s2
	v_mov_b32_dpp v6, v4 row_shr:2 row_mask:0xf bank_mask:0xf
	s_delay_alu instid0(VALU_DEP_2)
	v_mov_b32_dpp v13, v3 row_shr:2 row_mask:0xf bank_mask:0xf
	s_mov_b32 s2, exec_lo
	v_cmpx_lt_u32_e32 1, v15
; %bb.374:
	v_mov_b32_e32 v12, 0
	s_delay_alu instid0(VALU_DEP_1) | instskip(NEXT) | instid1(VALU_DEP_1)
	v_mov_b32_e32 v7, v12
	v_add_nc_u64_e32 v[4:5], v[2:3], v[6:7]
	s_delay_alu instid0(VALU_DEP_1)
	v_add_nc_u64_e32 v[2:3], v[12:13], v[4:5]
; %bb.375:
	s_or_b32 exec_lo, exec_lo, s2
	v_mov_b32_dpp v4, v4 row_shr:4 row_mask:0xf bank_mask:0xf
	s_delay_alu instid0(VALU_DEP_2)
	v_mov_b32_dpp v7, v3 row_shr:4 row_mask:0xf bank_mask:0xf
	s_mov_b32 s2, exec_lo
	v_cmpx_lt_u32_e32 3, v15
; %bb.376:
	v_mov_b32_e32 v6, 0
	s_delay_alu instid0(VALU_DEP_1) | instskip(NEXT) | instid1(VALU_DEP_1)
	v_mov_b32_e32 v5, v6
	v_add_nc_u64_e32 v[2:3], v[2:3], v[4:5]
	s_delay_alu instid0(VALU_DEP_1)
	v_add_nc_u64_e32 v[2:3], v[2:3], v[6:7]
; %bb.377:
	s_or_b32 exec_lo, exec_lo, s2
	ds_store_b64 v14, v[2:3]
.LBB23_378:
	s_or_b32 exec_lo, exec_lo, s1
	s_delay_alu instid0(SALU_CYCLE_1)
	s_mov_b32 s2, exec_lo
	v_cmp_gt_u32_e32 vcc_lo, 32, v16
	s_wait_dscnt 0x0
	s_barrier_signal -1
	s_barrier_wait -1
                                        ; implicit-def: $vgpr12_vgpr13
	v_cmpx_lt_u32_e32 31, v16
	s_cbranch_execz .LBB23_380
; %bb.379:
	v_lshl_add_u32 v1, v1, 3, -8
	ds_load_b64 v[12:13], v1
	s_wait_dscnt 0x0
	v_add_nc_u32_e32 v0, v0, v12
.LBB23_380:
	s_or_b32 exec_lo, exec_lo, s2
	v_sub_co_u32 v1, s1, v46, 1
	s_delay_alu instid0(VALU_DEP_1) | instskip(NEXT) | instid1(VALU_DEP_1)
	v_cmp_gt_i32_e64 s2, 0, v1
	v_cndmask_b32_e64 v1, v1, v46, s2
	s_delay_alu instid0(VALU_DEP_1)
	v_lshlrev_b32_e32 v1, 2, v1
	ds_bpermute_b32 v47, v1, v0
	s_and_saveexec_b32 s2, vcc_lo
	s_cbranch_execz .LBB23_419
; %bb.381:
	v_mov_b32_e32 v3, 0
	ds_load_b64 v[0:1], v3 offset:56
	s_and_saveexec_b32 s3, s1
	s_cbranch_execz .LBB23_383
; %bb.382:
	s_add_co_i32 s4, s23, 32
	s_mov_b32 s5, 0
	v_mov_b32_e32 v2, 1
	s_lshl_b64 s[4:5], s[4:5], 4
	s_delay_alu instid0(SALU_CYCLE_1) | instskip(NEXT) | instid1(SALU_CYCLE_1)
	s_add_nc_u64 s[4:5], s[28:29], s[4:5]
	v_mov_b64_e32 v[4:5], s[4:5]
	s_wait_dscnt 0x0
	;;#ASMSTART
	global_store_b128 v[4:5], v[0:3] off scope:SCOPE_DEV	
s_wait_storecnt 0x0
	;;#ASMEND
.LBB23_383:
	s_or_b32 exec_lo, exec_lo, s3
	v_xad_u32 v14, v46, -1, s23
	s_mov_b32 s4, 0
	s_mov_b32 s3, exec_lo
	s_delay_alu instid0(VALU_DEP_1) | instskip(NEXT) | instid1(VALU_DEP_1)
	v_add_nc_u32_e32 v2, 32, v14
	v_lshl_add_u64 v[2:3], v[2:3], 4, s[28:29]
	;;#ASMSTART
	global_load_b128 v[4:7], v[2:3] off scope:SCOPE_DEV	
s_wait_loadcnt 0x0
	;;#ASMEND
	v_and_b32_e32 v7, 0xff, v6
	s_delay_alu instid0(VALU_DEP_1)
	v_cmpx_eq_u16_e32 0, v7
	s_cbranch_execz .LBB23_386
.LBB23_384:                             ; =>This Inner Loop Header: Depth=1
	;;#ASMSTART
	global_load_b128 v[4:7], v[2:3] off scope:SCOPE_DEV	
s_wait_loadcnt 0x0
	;;#ASMEND
	v_and_b32_e32 v7, 0xff, v6
	s_delay_alu instid0(VALU_DEP_1) | instskip(SKIP_1) | instid1(SALU_CYCLE_1)
	v_cmp_ne_u16_e32 vcc_lo, 0, v7
	s_or_b32 s4, vcc_lo, s4
	s_and_not1_b32 exec_lo, exec_lo, s4
	s_cbranch_execnz .LBB23_384
; %bb.385:
	s_or_b32 exec_lo, exec_lo, s4
.LBB23_386:
	s_delay_alu instid0(SALU_CYCLE_1)
	s_or_b32 exec_lo, exec_lo, s3
	v_cmp_ne_u32_e32 vcc_lo, 31, v46
	v_and_b32_e32 v3, 0xff, v6
	v_lshlrev_b32_e64 v49, v46, -1
	s_mov_b32 s3, exec_lo
	v_add_co_ci_u32_e64 v2, null, 0, v46, vcc_lo
	s_delay_alu instid0(VALU_DEP_3) | instskip(NEXT) | instid1(VALU_DEP_2)
	v_cmp_eq_u16_e32 vcc_lo, 2, v3
	v_lshlrev_b32_e32 v48, 2, v2
	v_and_or_b32 v2, vcc_lo, v49, 0x80000000
	s_delay_alu instid0(VALU_DEP_1)
	v_ctz_i32_b32_e32 v7, v2
	v_mov_b32_e32 v2, v4
	ds_bpermute_b32 v18, v48, v4
	ds_bpermute_b32 v21, v48, v5
	v_cmpx_lt_u32_e64 v46, v7
	s_cbranch_execz .LBB23_388
; %bb.387:
	v_mov_b32_e32 v20, 0
	s_delay_alu instid0(VALU_DEP_1) | instskip(SKIP_1) | instid1(VALU_DEP_1)
	v_mov_b32_e32 v19, v20
	s_wait_dscnt 0x1
	v_add_nc_u64_e32 v[2:3], v[4:5], v[18:19]
	s_wait_dscnt 0x0
	s_delay_alu instid0(VALU_DEP_1)
	v_add_nc_u64_e32 v[4:5], v[20:21], v[2:3]
.LBB23_388:
	s_or_b32 exec_lo, exec_lo, s3
	v_cmp_gt_u32_e32 vcc_lo, 30, v46
	v_add_nc_u32_e32 v51, 2, v46
	s_mov_b32 s3, exec_lo
	v_cndmask_b32_e64 v3, 0, 2, vcc_lo
	s_delay_alu instid0(VALU_DEP_1)
	v_add_lshl_u32 v50, v3, v46, 2
	s_wait_dscnt 0x1
	ds_bpermute_b32 v18, v50, v2
	s_wait_dscnt 0x1
	ds_bpermute_b32 v21, v50, v5
	v_cmpx_le_u32_e64 v51, v7
	s_cbranch_execz .LBB23_390
; %bb.389:
	v_mov_b32_e32 v20, 0
	s_delay_alu instid0(VALU_DEP_1) | instskip(SKIP_1) | instid1(VALU_DEP_1)
	v_mov_b32_e32 v19, v20
	s_wait_dscnt 0x1
	v_add_nc_u64_e32 v[2:3], v[4:5], v[18:19]
	s_wait_dscnt 0x0
	s_delay_alu instid0(VALU_DEP_1)
	v_add_nc_u64_e32 v[4:5], v[20:21], v[2:3]
.LBB23_390:
	s_or_b32 exec_lo, exec_lo, s3
	v_cmp_gt_u32_e32 vcc_lo, 28, v46
	v_add_nc_u32_e32 v53, 4, v46
	s_mov_b32 s3, exec_lo
	v_cndmask_b32_e64 v3, 0, 4, vcc_lo
	s_delay_alu instid0(VALU_DEP_1)
	v_add_lshl_u32 v52, v3, v46, 2
	s_wait_dscnt 0x1
	ds_bpermute_b32 v18, v52, v2
	s_wait_dscnt 0x1
	ds_bpermute_b32 v21, v52, v5
	v_cmpx_le_u32_e64 v53, v7
	;; [unrolled: 23-line block ×3, first 2 shown]
	s_cbranch_execz .LBB23_394
; %bb.393:
	v_mov_b32_e32 v20, 0
	s_delay_alu instid0(VALU_DEP_1) | instskip(SKIP_1) | instid1(VALU_DEP_1)
	v_mov_b32_e32 v19, v20
	s_wait_dscnt 0x1
	v_add_nc_u64_e32 v[2:3], v[4:5], v[18:19]
	s_wait_dscnt 0x0
	s_delay_alu instid0(VALU_DEP_1)
	v_add_nc_u64_e32 v[4:5], v[20:21], v[2:3]
.LBB23_394:
	s_or_b32 exec_lo, exec_lo, s3
	v_lshl_or_b32 v56, v46, 2, 64
	v_add_nc_u32_e32 v57, 16, v46
	s_mov_b32 s3, exec_lo
	ds_bpermute_b32 v2, v56, v2
	ds_bpermute_b32 v19, v56, v5
	v_cmpx_le_u32_e64 v57, v7
	s_cbranch_execz .LBB23_396
; %bb.395:
	s_wait_dscnt 0x3
	v_mov_b32_e32 v18, 0
	s_delay_alu instid0(VALU_DEP_1) | instskip(SKIP_1) | instid1(VALU_DEP_1)
	v_mov_b32_e32 v3, v18
	s_wait_dscnt 0x1
	v_add_nc_u64_e32 v[2:3], v[4:5], v[2:3]
	s_wait_dscnt 0x0
	s_delay_alu instid0(VALU_DEP_1)
	v_add_nc_u64_e32 v[4:5], v[2:3], v[18:19]
.LBB23_396:
	s_or_b32 exec_lo, exec_lo, s3
	v_mov_b32_e32 v15, 0
	s_branch .LBB23_399
.LBB23_397:                             ;   in Loop: Header=BB23_399 Depth=1
	s_or_b32 exec_lo, exec_lo, s3
	s_delay_alu instid0(VALU_DEP_1)
	v_add_nc_u64_e32 v[4:5], v[4:5], v[2:3]
	v_subrev_nc_u32_e32 v14, 32, v14
	s_mov_b32 s3, 0
.LBB23_398:                             ;   in Loop: Header=BB23_399 Depth=1
	s_delay_alu instid0(SALU_CYCLE_1)
	s_and_b32 vcc_lo, exec_lo, s3
	s_cbranch_vccnz .LBB23_415
.LBB23_399:                             ; =>This Loop Header: Depth=1
                                        ;     Child Loop BB23_402 Depth 2
	s_wait_dscnt 0x1
	v_and_b32_e32 v2, 0xff, v6
	s_mov_b32 s3, -1
	s_delay_alu instid0(VALU_DEP_1)
	v_cmp_ne_u16_e32 vcc_lo, 2, v2
	v_mov_b64_e32 v[2:3], v[4:5]
                                        ; implicit-def: $vgpr4_vgpr5
	s_cmp_lg_u32 vcc_lo, exec_lo
	s_cbranch_scc1 .LBB23_398
; %bb.400:                              ;   in Loop: Header=BB23_399 Depth=1
	s_wait_dscnt 0x0
	v_lshl_add_u64 v[18:19], v[14:15], 4, s[28:29]
	;;#ASMSTART
	global_load_b128 v[4:7], v[18:19] off scope:SCOPE_DEV	
s_wait_loadcnt 0x0
	;;#ASMEND
	v_and_b32_e32 v7, 0xff, v6
	s_mov_b32 s3, exec_lo
	s_delay_alu instid0(VALU_DEP_1)
	v_cmpx_eq_u16_e32 0, v7
	s_cbranch_execz .LBB23_404
; %bb.401:                              ;   in Loop: Header=BB23_399 Depth=1
	s_mov_b32 s4, 0
.LBB23_402:                             ;   Parent Loop BB23_399 Depth=1
                                        ; =>  This Inner Loop Header: Depth=2
	;;#ASMSTART
	global_load_b128 v[4:7], v[18:19] off scope:SCOPE_DEV	
s_wait_loadcnt 0x0
	;;#ASMEND
	v_and_b32_e32 v7, 0xff, v6
	s_delay_alu instid0(VALU_DEP_1) | instskip(SKIP_1) | instid1(SALU_CYCLE_1)
	v_cmp_ne_u16_e32 vcc_lo, 0, v7
	s_or_b32 s4, vcc_lo, s4
	s_and_not1_b32 exec_lo, exec_lo, s4
	s_cbranch_execnz .LBB23_402
; %bb.403:                              ;   in Loop: Header=BB23_399 Depth=1
	s_or_b32 exec_lo, exec_lo, s4
.LBB23_404:                             ;   in Loop: Header=BB23_399 Depth=1
	s_delay_alu instid0(SALU_CYCLE_1)
	s_or_b32 exec_lo, exec_lo, s3
	v_and_b32_e32 v7, 0xff, v6
	ds_bpermute_b32 v20, v48, v4
	ds_bpermute_b32 v23, v48, v5
	v_mov_b32_e32 v18, v4
	s_mov_b32 s3, exec_lo
	v_cmp_eq_u16_e32 vcc_lo, 2, v7
	v_and_or_b32 v7, vcc_lo, v49, 0x80000000
	s_delay_alu instid0(VALU_DEP_1) | instskip(NEXT) | instid1(VALU_DEP_1)
	v_ctz_i32_b32_e32 v7, v7
	v_cmpx_lt_u32_e64 v46, v7
	s_cbranch_execz .LBB23_406
; %bb.405:                              ;   in Loop: Header=BB23_399 Depth=1
	v_dual_mov_b32 v21, v15 :: v_dual_mov_b32 v22, v15
	s_wait_dscnt 0x1
	s_delay_alu instid0(VALU_DEP_1) | instskip(SKIP_1) | instid1(VALU_DEP_1)
	v_add_nc_u64_e32 v[18:19], v[4:5], v[20:21]
	s_wait_dscnt 0x0
	v_add_nc_u64_e32 v[4:5], v[22:23], v[18:19]
.LBB23_406:                             ;   in Loop: Header=BB23_399 Depth=1
	s_or_b32 exec_lo, exec_lo, s3
	ds_bpermute_b32 v22, v50, v18
	ds_bpermute_b32 v21, v50, v5
	s_mov_b32 s3, exec_lo
	v_cmpx_le_u32_e64 v51, v7
	s_cbranch_execz .LBB23_408
; %bb.407:                              ;   in Loop: Header=BB23_399 Depth=1
	s_wait_dscnt 0x2
	v_dual_mov_b32 v23, v15 :: v_dual_mov_b32 v20, v15
	s_wait_dscnt 0x1
	s_delay_alu instid0(VALU_DEP_1) | instskip(SKIP_1) | instid1(VALU_DEP_1)
	v_add_nc_u64_e32 v[18:19], v[4:5], v[22:23]
	s_wait_dscnt 0x0
	v_add_nc_u64_e32 v[4:5], v[20:21], v[18:19]
.LBB23_408:                             ;   in Loop: Header=BB23_399 Depth=1
	s_or_b32 exec_lo, exec_lo, s3
	s_wait_dscnt 0x1
	ds_bpermute_b32 v22, v52, v18
	s_wait_dscnt 0x1
	ds_bpermute_b32 v21, v52, v5
	s_mov_b32 s3, exec_lo
	v_cmpx_le_u32_e64 v53, v7
	s_cbranch_execz .LBB23_410
; %bb.409:                              ;   in Loop: Header=BB23_399 Depth=1
	v_dual_mov_b32 v23, v15 :: v_dual_mov_b32 v20, v15
	s_wait_dscnt 0x1
	s_delay_alu instid0(VALU_DEP_1) | instskip(SKIP_1) | instid1(VALU_DEP_1)
	v_add_nc_u64_e32 v[18:19], v[4:5], v[22:23]
	s_wait_dscnt 0x0
	v_add_nc_u64_e32 v[4:5], v[20:21], v[18:19]
.LBB23_410:                             ;   in Loop: Header=BB23_399 Depth=1
	s_or_b32 exec_lo, exec_lo, s3
	s_wait_dscnt 0x1
	ds_bpermute_b32 v22, v54, v18
	s_wait_dscnt 0x1
	ds_bpermute_b32 v21, v54, v5
	s_mov_b32 s3, exec_lo
	v_cmpx_le_u32_e64 v55, v7
	s_cbranch_execz .LBB23_412
; %bb.411:                              ;   in Loop: Header=BB23_399 Depth=1
	v_dual_mov_b32 v23, v15 :: v_dual_mov_b32 v20, v15
	s_wait_dscnt 0x1
	s_delay_alu instid0(VALU_DEP_1) | instskip(SKIP_1) | instid1(VALU_DEP_1)
	v_add_nc_u64_e32 v[18:19], v[4:5], v[22:23]
	s_wait_dscnt 0x0
	v_add_nc_u64_e32 v[4:5], v[20:21], v[18:19]
.LBB23_412:                             ;   in Loop: Header=BB23_399 Depth=1
	s_or_b32 exec_lo, exec_lo, s3
	ds_bpermute_b32 v20, v56, v18
	ds_bpermute_b32 v19, v56, v5
	s_mov_b32 s3, exec_lo
	v_cmpx_le_u32_e64 v57, v7
	s_cbranch_execz .LBB23_397
; %bb.413:                              ;   in Loop: Header=BB23_399 Depth=1
	s_wait_dscnt 0x2
	v_dual_mov_b32 v21, v15 :: v_dual_mov_b32 v18, v15
	s_wait_dscnt 0x1
	s_delay_alu instid0(VALU_DEP_1) | instskip(SKIP_1) | instid1(VALU_DEP_1)
	v_add_nc_u64_e32 v[4:5], v[4:5], v[20:21]
	s_wait_dscnt 0x0
	v_add_nc_u64_e32 v[4:5], v[4:5], v[18:19]
	s_branch .LBB23_397
.LBB23_414:
                                        ; implicit-def: $vgpr2_vgpr3
                                        ; implicit-def: $vgpr4_vgpr5
	s_and_b32 vcc_lo, exec_lo, s1
	s_cbranch_vccnz .LBB23_420
	s_branch .LBB23_445
.LBB23_415:
	s_and_saveexec_b32 s3, s1
	s_cbranch_execz .LBB23_417
; %bb.416:
	s_add_co_i32 s4, s23, 32
	s_mov_b32 s5, 0
	v_dual_mov_b32 v6, 2 :: v_dual_mov_b32 v7, 0
	s_lshl_b64 s[4:5], s[4:5], 4
	v_add_nc_u64_e32 v[4:5], v[2:3], v[0:1]
	s_add_nc_u64 s[4:5], s[28:29], s[4:5]
	s_delay_alu instid0(SALU_CYCLE_1)
	v_mov_b64_e32 v[14:15], s[4:5]
	;;#ASMSTART
	global_store_b128 v[14:15], v[4:7] off scope:SCOPE_DEV	
s_wait_storecnt 0x0
	;;#ASMEND
	ds_store_b128 v7, v[0:3] offset:64
.LBB23_417:
	s_or_b32 exec_lo, exec_lo, s3
	s_delay_alu instid0(SALU_CYCLE_1)
	s_and_b32 exec_lo, exec_lo, s0
; %bb.418:
	v_mov_b32_e32 v0, 0
	ds_store_b64 v0, v[2:3] offset:56
.LBB23_419:
	s_or_b32 exec_lo, exec_lo, s2
	v_mov_b32_e32 v0, 0
	s_wait_dscnt 0x0
	s_barrier_signal -1
	s_barrier_wait -1
	ds_load_b64 v[4:5], v0 offset:56
	s_wait_dscnt 0x0
	s_barrier_signal -1
	s_barrier_wait -1
	ds_load_b128 v[0:3], v0 offset:64
	s_wait_dscnt 0x0
	v_dual_cndmask_b32 v1, 0, v13, s1 :: v_dual_cndmask_b32 v6, v47, v12, s1
	s_delay_alu instid0(VALU_DEP_1) | instskip(NEXT) | instid1(VALU_DEP_2)
	v_cndmask_b32_e64 v7, v1, 0, s0
	v_cndmask_b32_e64 v6, v6, 0, s0
	s_delay_alu instid0(VALU_DEP_1)
	v_add_nc_u64_e32 v[4:5], v[4:5], v[6:7]
	s_branch .LBB23_445
.LBB23_420:
	v_dual_mov_b32 v3, 0 :: v_dual_bitop2_b32 v6, 15, v46 bitop3:0x40
	v_mov_b64_e32 v[0:1], v[10:11]
	v_mov_b32_dpp v2, v10 row_shr:1 row_mask:0xf bank_mask:0xf
	s_mov_b32 s1, exec_lo
	s_delay_alu instid0(VALU_DEP_3)
	v_mov_b32_dpp v5, v3 row_shr:1 row_mask:0xf bank_mask:0xf
	v_cmpx_ne_u32_e32 0, v6
; %bb.421:
	v_mov_b32_e32 v4, 0
	s_delay_alu instid0(VALU_DEP_1) | instskip(NEXT) | instid1(VALU_DEP_1)
	v_mov_b32_e32 v3, v4
	v_add_nc_u64_e32 v[10:11], v[2:3], v[10:11]
	s_delay_alu instid0(VALU_DEP_1) | instskip(NEXT) | instid1(VALU_DEP_1)
	v_add_nc_u64_e32 v[2:3], v[4:5], v[10:11]
	v_mov_b64_e32 v[0:1], v[2:3]
; %bb.422:
	s_or_b32 exec_lo, exec_lo, s1
	v_mov_b32_dpp v2, v10 row_shr:2 row_mask:0xf bank_mask:0xf
	v_mov_b32_dpp v5, v3 row_shr:2 row_mask:0xf bank_mask:0xf
	s_mov_b32 s1, exec_lo
	v_cmpx_lt_u32_e32 1, v6
; %bb.423:
	v_mov_b32_e32 v4, 0
	s_delay_alu instid0(VALU_DEP_1) | instskip(NEXT) | instid1(VALU_DEP_1)
	v_mov_b32_e32 v3, v4
	v_add_nc_u64_e32 v[10:11], v[0:1], v[2:3]
	s_delay_alu instid0(VALU_DEP_1) | instskip(NEXT) | instid1(VALU_DEP_1)
	v_add_nc_u64_e32 v[2:3], v[4:5], v[10:11]
	v_mov_b64_e32 v[0:1], v[2:3]
; %bb.424:
	s_or_b32 exec_lo, exec_lo, s1
	v_mov_b32_dpp v2, v10 row_shr:4 row_mask:0xf bank_mask:0xf
	v_mov_b32_dpp v5, v3 row_shr:4 row_mask:0xf bank_mask:0xf
	s_mov_b32 s1, exec_lo
	v_cmpx_lt_u32_e32 3, v6
	;; [unrolled: 14-line block ×3, first 2 shown]
; %bb.427:
	v_mov_b32_e32 v4, 0
	s_delay_alu instid0(VALU_DEP_1) | instskip(NEXT) | instid1(VALU_DEP_1)
	v_mov_b32_e32 v3, v4
	v_add_nc_u64_e32 v[10:11], v[0:1], v[2:3]
	s_delay_alu instid0(VALU_DEP_1) | instskip(NEXT) | instid1(VALU_DEP_1)
	v_add_nc_u64_e32 v[0:1], v[4:5], v[10:11]
	v_mov_b32_e32 v3, v1
; %bb.428:
	s_or_b32 exec_lo, exec_lo, s1
	ds_swizzle_b32 v2, v10 offset:swizzle(BROADCAST,32,15)
	ds_swizzle_b32 v5, v3 offset:swizzle(BROADCAST,32,15)
	v_and_b32_e32 v3, 16, v46
	s_mov_b32 s1, exec_lo
	s_delay_alu instid0(VALU_DEP_1)
	v_cmpx_ne_u32_e32 0, v3
	s_cbranch_execz .LBB23_430
; %bb.429:
	v_mov_b32_e32 v4, 0
	s_delay_alu instid0(VALU_DEP_1) | instskip(SKIP_1) | instid1(VALU_DEP_1)
	v_mov_b32_e32 v3, v4
	s_wait_dscnt 0x1
	v_add_nc_u64_e32 v[10:11], v[0:1], v[2:3]
	s_wait_dscnt 0x0
	s_delay_alu instid0(VALU_DEP_1)
	v_add_nc_u64_e32 v[0:1], v[4:5], v[10:11]
.LBB23_430:
	s_or_b32 exec_lo, exec_lo, s1
	s_wait_dscnt 0x1
	v_and_b32_e32 v2, 0x3e0, v16
	s_mov_b32 s1, exec_lo
	v_lshrrev_b32_e32 v11, 5, v16
	s_delay_alu instid0(VALU_DEP_2) | instskip(NEXT) | instid1(VALU_DEP_1)
	v_min_u32_e32 v2, 0xe0, v2
	v_or_b32_e32 v2, 31, v2
	s_delay_alu instid0(VALU_DEP_1)
	v_cmpx_eq_u32_e64 v16, v2
; %bb.431:
	s_delay_alu instid0(VALU_DEP_4)
	v_lshlrev_b32_e32 v2, 3, v11
	ds_store_b64 v2, v[0:1]
; %bb.432:
	s_or_b32 exec_lo, exec_lo, s1
	s_delay_alu instid0(SALU_CYCLE_1)
	s_mov_b32 s1, exec_lo
	s_wait_dscnt 0x0
	s_barrier_signal -1
	s_barrier_wait -1
	v_cmpx_gt_u32_e32 8, v16
	s_cbranch_execz .LBB23_440
; %bb.433:
	v_dual_add_nc_u32 v8, v8, v8 :: v_dual_bitop2_b32 v12, 7, v46 bitop3:0x40
	s_mov_b32 s2, exec_lo
	ds_load_b64 v[0:1], v8
	s_wait_dscnt 0x0
	v_mov_b32_dpp v4, v0 row_shr:1 row_mask:0xf bank_mask:0xf
	v_mov_b32_dpp v7, v1 row_shr:1 row_mask:0xf bank_mask:0xf
	v_mov_b32_e32 v2, v0
	v_cmpx_ne_u32_e32 0, v12
; %bb.434:
	v_mov_b32_e32 v6, 0
	s_delay_alu instid0(VALU_DEP_1) | instskip(NEXT) | instid1(VALU_DEP_1)
	v_mov_b32_e32 v5, v6
	v_add_nc_u64_e32 v[2:3], v[0:1], v[4:5]
	s_delay_alu instid0(VALU_DEP_1)
	v_add_nc_u64_e32 v[0:1], v[6:7], v[2:3]
; %bb.435:
	s_or_b32 exec_lo, exec_lo, s2
	v_mov_b32_dpp v4, v2 row_shr:2 row_mask:0xf bank_mask:0xf
	s_delay_alu instid0(VALU_DEP_2)
	v_mov_b32_dpp v7, v1 row_shr:2 row_mask:0xf bank_mask:0xf
	s_mov_b32 s2, exec_lo
	v_cmpx_lt_u32_e32 1, v12
; %bb.436:
	v_mov_b32_e32 v6, 0
	s_delay_alu instid0(VALU_DEP_1) | instskip(NEXT) | instid1(VALU_DEP_1)
	v_mov_b32_e32 v5, v6
	v_add_nc_u64_e32 v[2:3], v[0:1], v[4:5]
	s_delay_alu instid0(VALU_DEP_1)
	v_add_nc_u64_e32 v[0:1], v[6:7], v[2:3]
; %bb.437:
	s_or_b32 exec_lo, exec_lo, s2
	v_mov_b32_dpp v2, v2 row_shr:4 row_mask:0xf bank_mask:0xf
	s_delay_alu instid0(VALU_DEP_2)
	v_mov_b32_dpp v5, v1 row_shr:4 row_mask:0xf bank_mask:0xf
	s_mov_b32 s2, exec_lo
	v_cmpx_lt_u32_e32 3, v12
; %bb.438:
	v_mov_b32_e32 v4, 0
	s_delay_alu instid0(VALU_DEP_1) | instskip(NEXT) | instid1(VALU_DEP_1)
	v_mov_b32_e32 v3, v4
	v_add_nc_u64_e32 v[0:1], v[0:1], v[2:3]
	s_delay_alu instid0(VALU_DEP_1)
	v_add_nc_u64_e32 v[0:1], v[0:1], v[4:5]
; %bb.439:
	s_or_b32 exec_lo, exec_lo, s2
	ds_store_b64 v8, v[0:1]
.LBB23_440:
	s_or_b32 exec_lo, exec_lo, s1
	v_mov_b64_e32 v[2:3], 0
	s_mov_b32 s1, exec_lo
	s_wait_dscnt 0x0
	s_barrier_signal -1
	s_barrier_wait -1
	v_cmpx_lt_u32_e32 31, v16
; %bb.441:
	v_lshl_add_u32 v0, v11, 3, -8
	ds_load_b64 v[2:3], v0
; %bb.442:
	s_or_b32 exec_lo, exec_lo, s1
	v_sub_co_u32 v0, vcc_lo, v46, 1
	s_wait_dscnt 0x0
	v_mov_b32_e32 v3, 0
	s_delay_alu instid0(VALU_DEP_2) | instskip(NEXT) | instid1(VALU_DEP_1)
	v_cmp_gt_i32_e64 s1, 0, v0
	v_cndmask_b32_e64 v0, v0, v46, s1
	s_delay_alu instid0(VALU_DEP_1)
	v_dual_add_nc_u32 v1, v10, v2 :: v_dual_lshlrev_b32 v0, 2, v0
	ds_bpermute_b32 v4, v0, v1
	ds_load_b64 v[0:1], v3 offset:56
	s_wait_dscnt 0x1
	v_cndmask_b32_e32 v4, v4, v2, vcc_lo
	s_and_saveexec_b32 s1, s0
	s_cbranch_execz .LBB23_444
; %bb.443:
	s_add_nc_u64 s[2:3], s[28:29], 0x200
	v_mov_b32_e32 v2, 2
	v_mov_b64_e32 v[6:7], s[2:3]
	s_wait_dscnt 0x0
	;;#ASMSTART
	global_store_b128 v[6:7], v[0:3] off scope:SCOPE_DEV	
s_wait_storecnt 0x0
	;;#ASMEND
.LBB23_444:
	s_or_b32 exec_lo, exec_lo, s1
	v_mov_b64_e32 v[2:3], 0
.LBB23_445:
	s_wait_dscnt 0x0
	s_delay_alu instid0(VALU_DEP_1)
	v_sub_nc_u32_e32 v1, v4, v2
	s_xor_b32 s0, s12, -1
	s_xor_b32 s1, s13, -1
	;; [unrolled: 1-line block ×5, first 2 shown]
	s_barrier_signal -1
	s_barrier_wait -1
	s_and_saveexec_b32 s5, s15
	s_cbranch_execnz .LBB23_483
; %bb.446:
	s_or_b32 exec_lo, exec_lo, s5
	s_and_saveexec_b32 s5, s4
	s_cbranch_execnz .LBB23_484
.LBB23_447:
	s_or_b32 exec_lo, exec_lo, s5
	s_and_saveexec_b32 s4, s3
	s_cbranch_execnz .LBB23_485
.LBB23_448:
	s_or_b32 exec_lo, exec_lo, s4
	s_and_saveexec_b32 s3, s2
	s_cbranch_execnz .LBB23_486
.LBB23_449:
	s_or_b32 exec_lo, exec_lo, s3
	s_and_saveexec_b32 s2, s1
	s_cbranch_execnz .LBB23_487
.LBB23_450:
	s_or_b32 exec_lo, exec_lo, s2
	s_and_saveexec_b32 s1, s0
.LBB23_451:
	v_dual_lshlrev_b32 v4, 2, v1 :: v_dual_add_nc_u32 v1, 1, v1
	ds_store_b32 v4, v29 offset:1024
.LBB23_452:
	s_or_b32 exec_lo, exec_lo, s1
	v_and_b32_e32 v4, 64, v45
	s_mov_b32 s0, exec_lo
	s_delay_alu instid0(VALU_DEP_1)
	v_cmpx_ne_u32_e32 0, v4
; %bb.453:
	v_dual_lshlrev_b32 v4, 2, v1 :: v_dual_add_nc_u32 v1, 1, v1
	ds_store_b32 v4, v30 offset:1024
; %bb.454:
	s_or_b32 exec_lo, exec_lo, s0
	v_and_b32_e32 v4, 0x80, v44
	s_mov_b32 s0, exec_lo
	s_delay_alu instid0(VALU_DEP_1)
	v_cmpx_ne_u32_e32 0, v4
; %bb.455:
	v_dual_lshlrev_b32 v4, 2, v1 :: v_dual_add_nc_u32 v1, 1, v1
	ds_store_b32 v4, v31 offset:1024
; %bb.456:
	;; [unrolled: 9-line block ×9, first 2 shown]
	s_or_b32 exec_lo, exec_lo, s0
	v_and_b32_e32 v4, 0x8000, v40
	s_mov_b32 s0, exec_lo
	s_delay_alu instid0(VALU_DEP_1)
	v_cmpx_ne_u32_e32 0, v4
; %bb.471:
	v_lshlrev_b32_e32 v1, 2, v1
	ds_store_b32 v1, v39 offset:1024
; %bb.472:
	s_or_b32 exec_lo, exec_lo, s0
	s_wait_dscnt 0x0
	s_barrier_signal -1
	s_barrier_wait -1
	s_mov_b32 s0, exec_lo
	v_cmpx_lt_i32_e64 v16, v0
	s_cbranch_execz .LBB23_482
; %bb.473:
	v_lshlrev_b64_e32 v[2:3], 2, v[2:3]
	v_xad_u32 v1, v16, -1, v0
	s_mov_b32 s1, -1
	s_mov_b32 s0, exec_lo
	s_delay_alu instid0(VALU_DEP_1)
	v_cmpx_lt_u32_e32 0xff, v1
	s_cbranch_execz .LBB23_479
; %bb.474:
	v_dual_lshrrev_b32 v1, 8, v1 :: v_dual_mov_b32 v17, v24
	v_add_nc_u64_e32 v[4:5], s[24:25], v[2:3]
	v_lshl_add_u32 v11, v16, 2, 0x400
	s_mov_b32 s1, 0
	s_delay_alu instid0(VALU_DEP_3) | instskip(SKIP_1) | instid1(VALU_DEP_2)
	v_dual_mov_b32 v7, 0 :: v_dual_add_nc_u32 v10, 1, v1
	v_mov_b64_e32 v[8:9], v[16:17]
	v_and_b32_e32 v1, 0x1fffffe, v10
	s_delay_alu instid0(VALU_DEP_1)
	v_mov_b32_e32 v12, v1
.LBB23_475:                             ; =>This Inner Loop Header: Depth=1
	ds_load_2addr_stride64_b32 v[14:15], v11 offset1:4
	v_dual_mov_b32 v6, v8 :: v_dual_add_nc_u32 v12, -2, v12
	v_add_nc_u32_e32 v8, 0x200, v8
	v_add_nc_u32_e32 v11, 0x800, v11
	s_delay_alu instid0(VALU_DEP_3) | instskip(SKIP_3) | instid1(VALU_DEP_3)
	v_lshl_add_u64 v[18:19], v[6:7], 2, v[4:5]
	v_mov_b32_e32 v6, v9
	v_cmp_eq_u32_e32 vcc_lo, 0, v12
	v_add_nc_u32_e32 v9, 0x200, v9
	v_lshl_add_u64 v[20:21], v[6:7], 2, v[4:5]
	s_or_b32 s1, vcc_lo, s1
	s_wait_dscnt 0x0
	s_clause 0x1
	global_store_b32 v[18:19], v14, off
	global_store_b32 v[20:21], v15, off
	s_wait_xcnt 0x0
	s_and_not1_b32 exec_lo, exec_lo, s1
	s_cbranch_execnz .LBB23_475
; %bb.476:
	s_or_b32 exec_lo, exec_lo, s1
	s_mov_b32 s1, 0
	s_mov_b32 s2, exec_lo
	v_cmpx_ne_u32_e64 v10, v1
; %bb.477:
	v_lshl_add_u32 v16, v1, 8, v16
	v_mov_b32_e32 v17, 0
	s_mov_b32 s1, exec_lo
; %bb.478:
	s_or_b32 exec_lo, exec_lo, s2
	s_delay_alu instid0(SALU_CYCLE_1)
	s_or_not1_b32 s1, s1, exec_lo
.LBB23_479:
	s_or_b32 exec_lo, exec_lo, s0
	s_delay_alu instid0(SALU_CYCLE_1)
	s_and_b32 exec_lo, exec_lo, s1
	s_cbranch_execz .LBB23_482
; %bb.480:
	v_add_nc_u64_e32 v[2:3], s[24:25], v[2:3]
	v_lshl_add_u32 v1, v16, 2, 0x400
	s_mov_b32 s0, 0
	s_delay_alu instid0(VALU_DEP_2)
	v_lshl_add_u64 v[2:3], v[16:17], 2, v[2:3]
.LBB23_481:                             ; =>This Inner Loop Header: Depth=1
	ds_load_b32 v4, v1
	v_add_nc_u32_e32 v16, 0x100, v16
	v_add_nc_u32_e32 v1, 0x400, v1
	s_delay_alu instid0(VALU_DEP_2)
	v_cmp_ge_i32_e32 vcc_lo, v16, v0
	s_or_b32 s0, vcc_lo, s0
	s_wait_dscnt 0x0
	global_store_b32 v[2:3], v4, off
	s_wait_xcnt 0x0
	v_add_nc_u64_e32 v[2:3], 0x400, v[2:3]
	s_and_not1_b32 exec_lo, exec_lo, s0
	s_cbranch_execnz .LBB23_481
.LBB23_482:
	s_sendmsg sendmsg(MSG_DEALLOC_VGPRS)
	s_endpgm
.LBB23_483:
	v_dual_add_nc_u32 v4, 1, v1 :: v_dual_lshlrev_b32 v5, 2, v1
	s_delay_alu instid0(VALU_DEP_1)
	v_mov_b32_e32 v1, v4
	ds_store_b32 v5, v25 offset:1024
	s_or_b32 exec_lo, exec_lo, s5
	s_and_saveexec_b32 s5, s4
	s_cbranch_execz .LBB23_447
.LBB23_484:
	v_dual_lshlrev_b32 v4, 2, v1 :: v_dual_add_nc_u32 v1, 1, v1
	ds_store_b32 v4, v9 offset:1024
	s_or_b32 exec_lo, exec_lo, s5
	s_and_saveexec_b32 s4, s3
	s_cbranch_execz .LBB23_448
.LBB23_485:
	v_dual_lshlrev_b32 v4, 2, v1 :: v_dual_add_nc_u32 v1, 1, v1
	ds_store_b32 v4, v26 offset:1024
	s_or_b32 exec_lo, exec_lo, s4
	s_and_saveexec_b32 s3, s2
	s_cbranch_execz .LBB23_449
.LBB23_486:
	v_dual_lshlrev_b32 v4, 2, v1 :: v_dual_add_nc_u32 v1, 1, v1
	ds_store_b32 v4, v27 offset:1024
	s_or_b32 exec_lo, exec_lo, s3
	s_and_saveexec_b32 s2, s1
	s_cbranch_execz .LBB23_450
.LBB23_487:
	v_dual_lshlrev_b32 v4, 2, v1 :: v_dual_add_nc_u32 v1, 1, v1
	ds_store_b32 v4, v28 offset:1024
	s_or_b32 exec_lo, exec_lo, s2
	s_and_saveexec_b32 s1, s0
	s_cbranch_execnz .LBB23_451
	s_branch .LBB23_452
	.section	.rodata,"a",@progbits
	.p2align	6, 0x0
	.amdhsa_kernel _ZN6thrust23THRUST_200600_302600_NS11hip_rocprim16__set_operations22lookback_set_op_kernelIN7rocprim17ROCPRIM_400000_NS13kernel_configILj256ELj16ELj4294967295EEELb0ENS0_6detail15normal_iteratorINS0_10device_ptrIKiEEEESD_PiSE_lNS9_INSA_IiEEEESE_NS0_4lessIiEENS2_23serial_set_intersectionENS5_6detail19lookback_scan_stateIlLb0ELb1EEEEEvT1_T2_T3_T4_T6_T7_T8_T9_PNS0_4pairIT5_SW_EEPSW_T10_NSK_16ordered_block_idIjEE
		.amdhsa_group_segment_fixed_size 36868
		.amdhsa_private_segment_fixed_size 0
		.amdhsa_kernarg_size 344
		.amdhsa_user_sgpr_count 2
		.amdhsa_user_sgpr_dispatch_ptr 0
		.amdhsa_user_sgpr_queue_ptr 0
		.amdhsa_user_sgpr_kernarg_segment_ptr 1
		.amdhsa_user_sgpr_dispatch_id 0
		.amdhsa_user_sgpr_kernarg_preload_length 0
		.amdhsa_user_sgpr_kernarg_preload_offset 0
		.amdhsa_user_sgpr_private_segment_size 0
		.amdhsa_wavefront_size32 1
		.amdhsa_uses_dynamic_stack 0
		.amdhsa_enable_private_segment 0
		.amdhsa_system_sgpr_workgroup_id_x 1
		.amdhsa_system_sgpr_workgroup_id_y 0
		.amdhsa_system_sgpr_workgroup_id_z 0
		.amdhsa_system_sgpr_workgroup_info 0
		.amdhsa_system_vgpr_workitem_id 2
		.amdhsa_next_free_vgpr 75
		.amdhsa_next_free_sgpr 44
		.amdhsa_named_barrier_count 0
		.amdhsa_reserve_vcc 1
		.amdhsa_float_round_mode_32 0
		.amdhsa_float_round_mode_16_64 0
		.amdhsa_float_denorm_mode_32 3
		.amdhsa_float_denorm_mode_16_64 3
		.amdhsa_fp16_overflow 0
		.amdhsa_memory_ordered 1
		.amdhsa_forward_progress 1
		.amdhsa_inst_pref_size 150
		.amdhsa_round_robin_scheduling 0
		.amdhsa_exception_fp_ieee_invalid_op 0
		.amdhsa_exception_fp_denorm_src 0
		.amdhsa_exception_fp_ieee_div_zero 0
		.amdhsa_exception_fp_ieee_overflow 0
		.amdhsa_exception_fp_ieee_underflow 0
		.amdhsa_exception_fp_ieee_inexact 0
		.amdhsa_exception_int_div_zero 0
	.end_amdhsa_kernel
	.section	.text._ZN6thrust23THRUST_200600_302600_NS11hip_rocprim16__set_operations22lookback_set_op_kernelIN7rocprim17ROCPRIM_400000_NS13kernel_configILj256ELj16ELj4294967295EEELb0ENS0_6detail15normal_iteratorINS0_10device_ptrIKiEEEESD_PiSE_lNS9_INSA_IiEEEESE_NS0_4lessIiEENS2_23serial_set_intersectionENS5_6detail19lookback_scan_stateIlLb0ELb1EEEEEvT1_T2_T3_T4_T6_T7_T8_T9_PNS0_4pairIT5_SW_EEPSW_T10_NSK_16ordered_block_idIjEE,"axG",@progbits,_ZN6thrust23THRUST_200600_302600_NS11hip_rocprim16__set_operations22lookback_set_op_kernelIN7rocprim17ROCPRIM_400000_NS13kernel_configILj256ELj16ELj4294967295EEELb0ENS0_6detail15normal_iteratorINS0_10device_ptrIKiEEEESD_PiSE_lNS9_INSA_IiEEEESE_NS0_4lessIiEENS2_23serial_set_intersectionENS5_6detail19lookback_scan_stateIlLb0ELb1EEEEEvT1_T2_T3_T4_T6_T7_T8_T9_PNS0_4pairIT5_SW_EEPSW_T10_NSK_16ordered_block_idIjEE,comdat
.Lfunc_end23:
	.size	_ZN6thrust23THRUST_200600_302600_NS11hip_rocprim16__set_operations22lookback_set_op_kernelIN7rocprim17ROCPRIM_400000_NS13kernel_configILj256ELj16ELj4294967295EEELb0ENS0_6detail15normal_iteratorINS0_10device_ptrIKiEEEESD_PiSE_lNS9_INSA_IiEEEESE_NS0_4lessIiEENS2_23serial_set_intersectionENS5_6detail19lookback_scan_stateIlLb0ELb1EEEEEvT1_T2_T3_T4_T6_T7_T8_T9_PNS0_4pairIT5_SW_EEPSW_T10_NSK_16ordered_block_idIjEE, .Lfunc_end23-_ZN6thrust23THRUST_200600_302600_NS11hip_rocprim16__set_operations22lookback_set_op_kernelIN7rocprim17ROCPRIM_400000_NS13kernel_configILj256ELj16ELj4294967295EEELb0ENS0_6detail15normal_iteratorINS0_10device_ptrIKiEEEESD_PiSE_lNS9_INSA_IiEEEESE_NS0_4lessIiEENS2_23serial_set_intersectionENS5_6detail19lookback_scan_stateIlLb0ELb1EEEEEvT1_T2_T3_T4_T6_T7_T8_T9_PNS0_4pairIT5_SW_EEPSW_T10_NSK_16ordered_block_idIjEE
                                        ; -- End function
	.set _ZN6thrust23THRUST_200600_302600_NS11hip_rocprim16__set_operations22lookback_set_op_kernelIN7rocprim17ROCPRIM_400000_NS13kernel_configILj256ELj16ELj4294967295EEELb0ENS0_6detail15normal_iteratorINS0_10device_ptrIKiEEEESD_PiSE_lNS9_INSA_IiEEEESE_NS0_4lessIiEENS2_23serial_set_intersectionENS5_6detail19lookback_scan_stateIlLb0ELb1EEEEEvT1_T2_T3_T4_T6_T7_T8_T9_PNS0_4pairIT5_SW_EEPSW_T10_NSK_16ordered_block_idIjEE.num_vgpr, 75
	.set _ZN6thrust23THRUST_200600_302600_NS11hip_rocprim16__set_operations22lookback_set_op_kernelIN7rocprim17ROCPRIM_400000_NS13kernel_configILj256ELj16ELj4294967295EEELb0ENS0_6detail15normal_iteratorINS0_10device_ptrIKiEEEESD_PiSE_lNS9_INSA_IiEEEESE_NS0_4lessIiEENS2_23serial_set_intersectionENS5_6detail19lookback_scan_stateIlLb0ELb1EEEEEvT1_T2_T3_T4_T6_T7_T8_T9_PNS0_4pairIT5_SW_EEPSW_T10_NSK_16ordered_block_idIjEE.num_agpr, 0
	.set _ZN6thrust23THRUST_200600_302600_NS11hip_rocprim16__set_operations22lookback_set_op_kernelIN7rocprim17ROCPRIM_400000_NS13kernel_configILj256ELj16ELj4294967295EEELb0ENS0_6detail15normal_iteratorINS0_10device_ptrIKiEEEESD_PiSE_lNS9_INSA_IiEEEESE_NS0_4lessIiEENS2_23serial_set_intersectionENS5_6detail19lookback_scan_stateIlLb0ELb1EEEEEvT1_T2_T3_T4_T6_T7_T8_T9_PNS0_4pairIT5_SW_EEPSW_T10_NSK_16ordered_block_idIjEE.numbered_sgpr, 44
	.set _ZN6thrust23THRUST_200600_302600_NS11hip_rocprim16__set_operations22lookback_set_op_kernelIN7rocprim17ROCPRIM_400000_NS13kernel_configILj256ELj16ELj4294967295EEELb0ENS0_6detail15normal_iteratorINS0_10device_ptrIKiEEEESD_PiSE_lNS9_INSA_IiEEEESE_NS0_4lessIiEENS2_23serial_set_intersectionENS5_6detail19lookback_scan_stateIlLb0ELb1EEEEEvT1_T2_T3_T4_T6_T7_T8_T9_PNS0_4pairIT5_SW_EEPSW_T10_NSK_16ordered_block_idIjEE.num_named_barrier, 0
	.set _ZN6thrust23THRUST_200600_302600_NS11hip_rocprim16__set_operations22lookback_set_op_kernelIN7rocprim17ROCPRIM_400000_NS13kernel_configILj256ELj16ELj4294967295EEELb0ENS0_6detail15normal_iteratorINS0_10device_ptrIKiEEEESD_PiSE_lNS9_INSA_IiEEEESE_NS0_4lessIiEENS2_23serial_set_intersectionENS5_6detail19lookback_scan_stateIlLb0ELb1EEEEEvT1_T2_T3_T4_T6_T7_T8_T9_PNS0_4pairIT5_SW_EEPSW_T10_NSK_16ordered_block_idIjEE.private_seg_size, 0
	.set _ZN6thrust23THRUST_200600_302600_NS11hip_rocprim16__set_operations22lookback_set_op_kernelIN7rocprim17ROCPRIM_400000_NS13kernel_configILj256ELj16ELj4294967295EEELb0ENS0_6detail15normal_iteratorINS0_10device_ptrIKiEEEESD_PiSE_lNS9_INSA_IiEEEESE_NS0_4lessIiEENS2_23serial_set_intersectionENS5_6detail19lookback_scan_stateIlLb0ELb1EEEEEvT1_T2_T3_T4_T6_T7_T8_T9_PNS0_4pairIT5_SW_EEPSW_T10_NSK_16ordered_block_idIjEE.uses_vcc, 1
	.set _ZN6thrust23THRUST_200600_302600_NS11hip_rocprim16__set_operations22lookback_set_op_kernelIN7rocprim17ROCPRIM_400000_NS13kernel_configILj256ELj16ELj4294967295EEELb0ENS0_6detail15normal_iteratorINS0_10device_ptrIKiEEEESD_PiSE_lNS9_INSA_IiEEEESE_NS0_4lessIiEENS2_23serial_set_intersectionENS5_6detail19lookback_scan_stateIlLb0ELb1EEEEEvT1_T2_T3_T4_T6_T7_T8_T9_PNS0_4pairIT5_SW_EEPSW_T10_NSK_16ordered_block_idIjEE.uses_flat_scratch, 0
	.set _ZN6thrust23THRUST_200600_302600_NS11hip_rocprim16__set_operations22lookback_set_op_kernelIN7rocprim17ROCPRIM_400000_NS13kernel_configILj256ELj16ELj4294967295EEELb0ENS0_6detail15normal_iteratorINS0_10device_ptrIKiEEEESD_PiSE_lNS9_INSA_IiEEEESE_NS0_4lessIiEENS2_23serial_set_intersectionENS5_6detail19lookback_scan_stateIlLb0ELb1EEEEEvT1_T2_T3_T4_T6_T7_T8_T9_PNS0_4pairIT5_SW_EEPSW_T10_NSK_16ordered_block_idIjEE.has_dyn_sized_stack, 0
	.set _ZN6thrust23THRUST_200600_302600_NS11hip_rocprim16__set_operations22lookback_set_op_kernelIN7rocprim17ROCPRIM_400000_NS13kernel_configILj256ELj16ELj4294967295EEELb0ENS0_6detail15normal_iteratorINS0_10device_ptrIKiEEEESD_PiSE_lNS9_INSA_IiEEEESE_NS0_4lessIiEENS2_23serial_set_intersectionENS5_6detail19lookback_scan_stateIlLb0ELb1EEEEEvT1_T2_T3_T4_T6_T7_T8_T9_PNS0_4pairIT5_SW_EEPSW_T10_NSK_16ordered_block_idIjEE.has_recursion, 0
	.set _ZN6thrust23THRUST_200600_302600_NS11hip_rocprim16__set_operations22lookback_set_op_kernelIN7rocprim17ROCPRIM_400000_NS13kernel_configILj256ELj16ELj4294967295EEELb0ENS0_6detail15normal_iteratorINS0_10device_ptrIKiEEEESD_PiSE_lNS9_INSA_IiEEEESE_NS0_4lessIiEENS2_23serial_set_intersectionENS5_6detail19lookback_scan_stateIlLb0ELb1EEEEEvT1_T2_T3_T4_T6_T7_T8_T9_PNS0_4pairIT5_SW_EEPSW_T10_NSK_16ordered_block_idIjEE.has_indirect_call, 0
	.section	.AMDGPU.csdata,"",@progbits
; Kernel info:
; codeLenInByte = 19156
; TotalNumSgprs: 46
; NumVgprs: 75
; ScratchSize: 0
; MemoryBound: 0
; FloatMode: 240
; IeeeMode: 1
; LDSByteSize: 36868 bytes/workgroup (compile time only)
; SGPRBlocks: 0
; VGPRBlocks: 4
; NumSGPRsForWavesPerEU: 46
; NumVGPRsForWavesPerEU: 75
; NamedBarCnt: 0
; Occupancy: 12
; WaveLimiterHint : 1
; COMPUTE_PGM_RSRC2:SCRATCH_EN: 0
; COMPUTE_PGM_RSRC2:USER_SGPR: 2
; COMPUTE_PGM_RSRC2:TRAP_HANDLER: 0
; COMPUTE_PGM_RSRC2:TGID_X_EN: 1
; COMPUTE_PGM_RSRC2:TGID_Y_EN: 0
; COMPUTE_PGM_RSRC2:TGID_Z_EN: 0
; COMPUTE_PGM_RSRC2:TIDIG_COMP_CNT: 2
	.section	.text._ZN6thrust23THRUST_200600_302600_NS11hip_rocprim14__parallel_for6kernelILj256EZNS1_16__set_operations9doit_stepILb0ENS0_6detail15normal_iteratorINS0_10device_ptrIKiEEEESB_PiSC_lNS7_INS8_IiEEEESC_NS0_4lessIiEENS4_21serial_set_differenceEEE10hipError_tPvRmT0_T1_T2_T3_T4_SP_T5_T6_PSP_T7_T8_P12ihipStream_tbEUllE_jLj1EEEvSL_SM_SM_,"axG",@progbits,_ZN6thrust23THRUST_200600_302600_NS11hip_rocprim14__parallel_for6kernelILj256EZNS1_16__set_operations9doit_stepILb0ENS0_6detail15normal_iteratorINS0_10device_ptrIKiEEEESB_PiSC_lNS7_INS8_IiEEEESC_NS0_4lessIiEENS4_21serial_set_differenceEEE10hipError_tPvRmT0_T1_T2_T3_T4_SP_T5_T6_PSP_T7_T8_P12ihipStream_tbEUllE_jLj1EEEvSL_SM_SM_,comdat
	.protected	_ZN6thrust23THRUST_200600_302600_NS11hip_rocprim14__parallel_for6kernelILj256EZNS1_16__set_operations9doit_stepILb0ENS0_6detail15normal_iteratorINS0_10device_ptrIKiEEEESB_PiSC_lNS7_INS8_IiEEEESC_NS0_4lessIiEENS4_21serial_set_differenceEEE10hipError_tPvRmT0_T1_T2_T3_T4_SP_T5_T6_PSP_T7_T8_P12ihipStream_tbEUllE_jLj1EEEvSL_SM_SM_ ; -- Begin function _ZN6thrust23THRUST_200600_302600_NS11hip_rocprim14__parallel_for6kernelILj256EZNS1_16__set_operations9doit_stepILb0ENS0_6detail15normal_iteratorINS0_10device_ptrIKiEEEESB_PiSC_lNS7_INS8_IiEEEESC_NS0_4lessIiEENS4_21serial_set_differenceEEE10hipError_tPvRmT0_T1_T2_T3_T4_SP_T5_T6_PSP_T7_T8_P12ihipStream_tbEUllE_jLj1EEEvSL_SM_SM_
	.globl	_ZN6thrust23THRUST_200600_302600_NS11hip_rocprim14__parallel_for6kernelILj256EZNS1_16__set_operations9doit_stepILb0ENS0_6detail15normal_iteratorINS0_10device_ptrIKiEEEESB_PiSC_lNS7_INS8_IiEEEESC_NS0_4lessIiEENS4_21serial_set_differenceEEE10hipError_tPvRmT0_T1_T2_T3_T4_SP_T5_T6_PSP_T7_T8_P12ihipStream_tbEUllE_jLj1EEEvSL_SM_SM_
	.p2align	8
	.type	_ZN6thrust23THRUST_200600_302600_NS11hip_rocprim14__parallel_for6kernelILj256EZNS1_16__set_operations9doit_stepILb0ENS0_6detail15normal_iteratorINS0_10device_ptrIKiEEEESB_PiSC_lNS7_INS8_IiEEEESC_NS0_4lessIiEENS4_21serial_set_differenceEEE10hipError_tPvRmT0_T1_T2_T3_T4_SP_T5_T6_PSP_T7_T8_P12ihipStream_tbEUllE_jLj1EEEvSL_SM_SM_,@function
_ZN6thrust23THRUST_200600_302600_NS11hip_rocprim14__parallel_for6kernelILj256EZNS1_16__set_operations9doit_stepILb0ENS0_6detail15normal_iteratorINS0_10device_ptrIKiEEEESB_PiSC_lNS7_INS8_IiEEEESC_NS0_4lessIiEENS4_21serial_set_differenceEEE10hipError_tPvRmT0_T1_T2_T3_T4_SP_T5_T6_PSP_T7_T8_P12ihipStream_tbEUllE_jLj1EEEvSL_SM_SM_: ; @_ZN6thrust23THRUST_200600_302600_NS11hip_rocprim14__parallel_for6kernelILj256EZNS1_16__set_operations9doit_stepILb0ENS0_6detail15normal_iteratorINS0_10device_ptrIKiEEEESB_PiSC_lNS7_INS8_IiEEEESC_NS0_4lessIiEENS4_21serial_set_differenceEEE10hipError_tPvRmT0_T1_T2_T3_T4_SP_T5_T6_PSP_T7_T8_P12ihipStream_tbEUllE_jLj1EEEvSL_SM_SM_
; %bb.0:
	s_clause 0x2
	s_load_b64 s[12:13], s[0:1], 0x30
	s_load_b64 s[2:3], s[0:1], 0x20
	s_load_b256 s[4:11], s[0:1], 0x0
	s_wait_xcnt 0x0
	s_bfe_u32 s0, ttmp6, 0x4000c
	s_and_b32 s1, ttmp6, 15
	s_add_co_i32 s0, s0, 1
	s_getreg_b32 s14, hwreg(HW_REG_IB_STS2, 6, 4)
	s_mul_i32 s0, ttmp9, s0
	s_delay_alu instid0(SALU_CYCLE_1) | instskip(SKIP_2) | instid1(SALU_CYCLE_1)
	s_add_co_i32 s1, s1, s0
	s_cmp_eq_u32 s14, 0
	s_cselect_b32 s0, ttmp9, s1
	s_lshl_b32 s0, s0, 8
	s_wait_kmcnt 0x0
	s_add_co_i32 s1, s13, s0
	s_mov_b32 s0, -1
	s_sub_co_i32 s12, s12, s1
	s_delay_alu instid0(SALU_CYCLE_1)
	s_cmp_gt_u32 s12, 0xff
	s_cbranch_scc0 .LBB24_3
; %bb.1:
	s_and_not1_b32 vcc_lo, exec_lo, s0
	s_cbranch_vccz .LBB24_40
.LBB24_2:
	s_endpgm
.LBB24_3:
	v_cmp_gt_u32_e32 vcc_lo, s12, v0
	s_and_saveexec_b32 s12, vcc_lo
	s_cbranch_execz .LBB24_39
; %bb.4:
	v_dual_mov_b32 v7, 0 :: v_dual_add_nc_u32 v6, s1, v0
	s_add_nc_u64 s[14:15], s[6:7], s[4:5]
	s_mov_b32 s0, exec_lo
	s_delay_alu instid0(VALU_DEP_1) | instskip(NEXT) | instid1(VALU_DEP_1)
	v_mul_u64_e32 v[2:3], 0xfff, v[6:7]
	v_min_i64 v[4:5], s[14:15], v[2:3]
	s_delay_alu instid0(VALU_DEP_1) | instskip(SKIP_1) | instid1(VALU_DEP_2)
	v_sub_nc_u64_e64 v[2:3], v[4:5], s[6:7]
	v_min_i64 v[8:9], s[4:5], v[4:5]
	v_max_i64 v[2:3], v[2:3], 0
	s_delay_alu instid0(VALU_DEP_1)
	v_cmpx_lt_i64_e64 v[2:3], v[8:9]
	s_cbranch_execz .LBB24_8
; %bb.5:
	v_lshl_add_u64 v[10:11], v[4:5], 2, s[2:3]
	s_mov_b32 s13, 0
.LBB24_6:                               ; =>This Inner Loop Header: Depth=1
	v_add_nc_u64_e32 v[12:13], v[8:9], v[2:3]
	s_delay_alu instid0(VALU_DEP_1) | instskip(NEXT) | instid1(VALU_DEP_1)
	v_lshrrev_b64 v[12:13], 1, v[12:13]
	v_lshlrev_b64_e32 v[14:15], 2, v[12:13]
	s_delay_alu instid0(VALU_DEP_1) | instskip(NEXT) | instid1(VALU_DEP_2)
	v_xor_b32_e32 v17, -1, v15
	v_xor_b32_e32 v16, -4, v14
	v_add_nc_u64_e32 v[14:15], s[10:11], v[14:15]
	s_delay_alu instid0(VALU_DEP_2)
	v_add_nc_u64_e32 v[16:17], v[10:11], v[16:17]
	global_load_b32 v1, v[14:15], off
	global_load_b32 v18, v[16:17], off
	s_wait_xcnt 0x1
	v_add_nc_u64_e32 v[14:15], 1, v[12:13]
	s_wait_loadcnt 0x0
	v_cmp_lt_i32_e32 vcc_lo, v18, v1
	v_dual_cndmask_b32 v9, v9, v13 :: v_dual_cndmask_b32 v8, v8, v12
	s_delay_alu instid0(VALU_DEP_3) | instskip(NEXT) | instid1(VALU_DEP_1)
	v_dual_cndmask_b32 v3, v15, v3 :: v_dual_cndmask_b32 v2, v14, v2
	v_cmp_ge_i64_e32 vcc_lo, v[2:3], v[8:9]
	s_or_b32 s13, vcc_lo, s13
	s_delay_alu instid0(SALU_CYCLE_1)
	s_and_not1_b32 exec_lo, exec_lo, s13
	s_cbranch_execnz .LBB24_6
; %bb.7:
	s_or_b32 exec_lo, exec_lo, s13
.LBB24_8:
	s_delay_alu instid0(SALU_CYCLE_1) | instskip(SKIP_3) | instid1(VALU_DEP_2)
	s_or_b32 exec_lo, exec_lo, s0
	v_sub_nc_u64_e32 v[12:13], v[4:5], v[2:3]
	v_mov_b64_e32 v[8:9], 0
	s_mov_b32 s13, exec_lo
	v_cmpx_gt_i64_e64 s[6:7], v[12:13]
	s_cbranch_execz .LBB24_38
; %bb.9:
	v_lshl_add_u64 v[10:11], v[12:13], 2, s[2:3]
	v_mov_b64_e32 v[8:9], 0
	v_mov_b64_e32 v[14:15], 0
	s_mov_b32 s0, exec_lo
	global_load_b32 v1, v[10:11], off
	s_wait_xcnt 0x0
	v_cmpx_lt_i64_e32 0, v[2:3]
	s_cbranch_execnz .LBB24_14
; %bb.10:
	s_or_b32 exec_lo, exec_lo, s0
	s_delay_alu instid0(SALU_CYCLE_1)
	s_mov_b32 s0, exec_lo
	v_cmpx_lt_u64_e64 v[8:9], v[14:15]
	s_cbranch_execnz .LBB24_15
.LBB24_11:
	s_or_b32 exec_lo, exec_lo, s0
	s_delay_alu instid0(SALU_CYCLE_1)
	s_mov_b32 s0, exec_lo
	v_cmpx_lt_u64_e64 v[8:9], v[14:15]
	s_cbranch_execnz .LBB24_16
.LBB24_12:
	s_or_b32 exec_lo, exec_lo, s0
	s_delay_alu instid0(SALU_CYCLE_1)
	s_mov_b32 s0, exec_lo
	v_cmpx_lt_u64_e64 v[8:9], v[14:15]
	s_cbranch_execnz .LBB24_17
.LBB24_13:
	s_or_b32 exec_lo, exec_lo, s0
	s_delay_alu instid0(SALU_CYCLE_1)
	s_mov_b32 s0, exec_lo
	v_cmpx_lt_u64_e64 v[8:9], v[14:15]
	s_cbranch_execnz .LBB24_18
	s_branch .LBB24_21
.LBB24_14:
	v_mul_u64_e32 v[8:9], 0x1ff, v[2:3]
	s_delay_alu instid0(VALU_DEP_1) | instskip(NEXT) | instid1(VALU_DEP_1)
	v_lshrrev_b64 v[14:15], 9, v[8:9]
	v_lshl_add_u64 v[8:9], v[14:15], 2, s[10:11]
	global_load_b32 v16, v[8:9], off
	s_wait_xcnt 0x0
	v_add_nc_u64_e32 v[8:9], 1, v[14:15]
	s_wait_loadcnt 0x0
	v_cmp_lt_i32_e32 vcc_lo, v16, v1
	s_delay_alu instid0(VALU_DEP_2) | instskip(SKIP_2) | instid1(SALU_CYCLE_1)
	v_dual_cndmask_b32 v9, 0, v9 :: v_dual_cndmask_b32 v8, 0, v8
	v_dual_cndmask_b32 v15, v15, v3 :: v_dual_cndmask_b32 v14, v14, v2
	s_or_b32 exec_lo, exec_lo, s0
	s_mov_b32 s0, exec_lo
	s_delay_alu instid0(VALU_DEP_1)
	v_cmpx_lt_u64_e64 v[8:9], v[14:15]
	s_cbranch_execz .LBB24_11
.LBB24_15:
	v_mad_nc_u64_u32 v[16:17], 0x7f, v14, v[8:9]
	s_delay_alu instid0(VALU_DEP_1) | instskip(NEXT) | instid1(VALU_DEP_1)
	v_mad_u32 v17, 0x7f, v15, v17
	v_lshrrev_b64 v[16:17], 7, v[16:17]
	s_delay_alu instid0(VALU_DEP_1)
	v_lshl_add_u64 v[18:19], v[16:17], 2, s[10:11]
	global_load_b32 v20, v[18:19], off
	s_wait_xcnt 0x0
	v_add_nc_u64_e32 v[18:19], 1, v[16:17]
	s_wait_loadcnt 0x0
	v_cmp_lt_i32_e32 vcc_lo, v20, v1
	s_delay_alu instid0(VALU_DEP_2) | instskip(SKIP_2) | instid1(SALU_CYCLE_1)
	v_dual_cndmask_b32 v9, v9, v19 :: v_dual_cndmask_b32 v8, v8, v18
	v_dual_cndmask_b32 v15, v17, v15 :: v_dual_cndmask_b32 v14, v16, v14
	s_or_b32 exec_lo, exec_lo, s0
	s_mov_b32 s0, exec_lo
	s_delay_alu instid0(VALU_DEP_1)
	v_cmpx_lt_u64_e64 v[8:9], v[14:15]
	s_cbranch_execz .LBB24_12
.LBB24_16:
	v_mad_nc_u64_u32 v[16:17], v14, 31, v[8:9]
	s_delay_alu instid0(VALU_DEP_1) | instskip(NEXT) | instid1(VALU_DEP_1)
	v_mad_u32 v17, v15, 31, v17
	v_lshrrev_b64 v[16:17], 5, v[16:17]
	s_delay_alu instid0(VALU_DEP_1)
	v_lshl_add_u64 v[18:19], v[16:17], 2, s[10:11]
	global_load_b32 v20, v[18:19], off
	s_wait_xcnt 0x0
	v_add_nc_u64_e32 v[18:19], 1, v[16:17]
	s_wait_loadcnt 0x0
	v_cmp_lt_i32_e32 vcc_lo, v20, v1
	s_delay_alu instid0(VALU_DEP_2) | instskip(SKIP_2) | instid1(SALU_CYCLE_1)
	v_dual_cndmask_b32 v9, v9, v19 :: v_dual_cndmask_b32 v8, v8, v18
	v_dual_cndmask_b32 v15, v17, v15 :: v_dual_cndmask_b32 v14, v16, v14
	s_or_b32 exec_lo, exec_lo, s0
	s_mov_b32 s0, exec_lo
	s_delay_alu instid0(VALU_DEP_1)
	v_cmpx_lt_u64_e64 v[8:9], v[14:15]
	s_cbranch_execz .LBB24_13
.LBB24_17:
	v_mad_nc_u64_u32 v[16:17], v14, 15, v[8:9]
	s_delay_alu instid0(VALU_DEP_1) | instskip(NEXT) | instid1(VALU_DEP_1)
	v_mad_u32 v17, v15, 15, v17
	v_lshrrev_b64 v[16:17], 4, v[16:17]
	s_delay_alu instid0(VALU_DEP_1)
	v_lshl_add_u64 v[18:19], v[16:17], 2, s[10:11]
	global_load_b32 v20, v[18:19], off
	s_wait_xcnt 0x0
	v_add_nc_u64_e32 v[18:19], 1, v[16:17]
	s_wait_loadcnt 0x0
	v_cmp_lt_i32_e32 vcc_lo, v20, v1
	s_delay_alu instid0(VALU_DEP_2) | instskip(SKIP_2) | instid1(SALU_CYCLE_1)
	v_dual_cndmask_b32 v9, v9, v19 :: v_dual_cndmask_b32 v8, v8, v18
	v_dual_cndmask_b32 v15, v17, v15 :: v_dual_cndmask_b32 v14, v16, v14
	s_or_b32 exec_lo, exec_lo, s0
	s_mov_b32 s0, exec_lo
	s_delay_alu instid0(VALU_DEP_1)
	v_cmpx_lt_u64_e64 v[8:9], v[14:15]
	s_cbranch_execz .LBB24_21
.LBB24_18:
	s_mov_b32 s14, 0
.LBB24_19:                              ; =>This Inner Loop Header: Depth=1
	v_add_nc_u64_e32 v[16:17], v[8:9], v[14:15]
	s_delay_alu instid0(VALU_DEP_1) | instskip(NEXT) | instid1(VALU_DEP_1)
	v_lshrrev_b64 v[16:17], 1, v[16:17]
	v_lshl_add_u64 v[18:19], v[16:17], 2, s[10:11]
	global_load_b32 v20, v[18:19], off
	s_wait_xcnt 0x0
	v_add_nc_u64_e32 v[18:19], 1, v[16:17]
	s_wait_loadcnt 0x0
	v_cmp_lt_i32_e32 vcc_lo, v20, v1
	s_delay_alu instid0(VALU_DEP_2) | instskip(SKIP_1) | instid1(VALU_DEP_1)
	v_dual_cndmask_b32 v9, v9, v19 :: v_dual_cndmask_b32 v8, v8, v18
	v_dual_cndmask_b32 v15, v17, v15 :: v_dual_cndmask_b32 v14, v16, v14
	v_cmp_ge_i64_e32 vcc_lo, v[8:9], v[14:15]
	s_or_b32 s14, vcc_lo, s14
	s_delay_alu instid0(SALU_CYCLE_1)
	s_and_not1_b32 exec_lo, exec_lo, s14
	s_cbranch_execnz .LBB24_19
; %bb.20:
	s_or_b32 exec_lo, exec_lo, s14
.LBB24_21:
	s_delay_alu instid0(SALU_CYCLE_1)
	s_or_b32 exec_lo, exec_lo, s0
	v_mov_b64_e32 v[14:15], 0
	v_mov_b64_e32 v[16:17], v[12:13]
	s_mov_b32 s0, exec_lo
	v_cmpx_lt_i64_e32 0, v[12:13]
	s_cbranch_execnz .LBB24_26
; %bb.22:
	s_or_b32 exec_lo, exec_lo, s0
	s_delay_alu instid0(SALU_CYCLE_1) | instskip(NEXT) | instid1(VALU_DEP_2)
	s_mov_b32 s0, exec_lo
	v_cmpx_lt_i64_e64 v[14:15], v[16:17]
	s_cbranch_execnz .LBB24_27
.LBB24_23:
	s_or_b32 exec_lo, exec_lo, s0
	s_delay_alu instid0(SALU_CYCLE_1)
	s_mov_b32 s0, exec_lo
	v_cmpx_lt_i64_e64 v[14:15], v[16:17]
	s_cbranch_execnz .LBB24_28
.LBB24_24:
	s_or_b32 exec_lo, exec_lo, s0
	s_delay_alu instid0(SALU_CYCLE_1)
	s_mov_b32 s0, exec_lo
	v_cmpx_lt_i64_e64 v[14:15], v[16:17]
	s_cbranch_execnz .LBB24_29
.LBB24_25:
	s_or_b32 exec_lo, exec_lo, s0
	s_delay_alu instid0(SALU_CYCLE_1)
	s_mov_b32 s0, exec_lo
	v_cmpx_lt_i64_e64 v[14:15], v[16:17]
	s_cbranch_execnz .LBB24_30
	s_branch .LBB24_33
.LBB24_26:
	v_mul_u64_e32 v[14:15], 0x1ff, v[12:13]
	s_delay_alu instid0(VALU_DEP_1) | instskip(NEXT) | instid1(VALU_DEP_1)
	v_lshrrev_b64 v[16:17], 9, v[14:15]
	v_lshl_add_u64 v[14:15], v[16:17], 2, s[2:3]
	global_load_b32 v18, v[14:15], off
	s_wait_xcnt 0x0
	v_add_nc_u64_e32 v[14:15], 1, v[16:17]
	s_wait_loadcnt 0x0
	v_cmp_lt_i32_e32 vcc_lo, v18, v1
	s_delay_alu instid0(VALU_DEP_2) | instskip(SKIP_2) | instid1(SALU_CYCLE_1)
	v_dual_cndmask_b32 v15, 0, v15 :: v_dual_cndmask_b32 v14, 0, v14
	v_dual_cndmask_b32 v17, v17, v13 :: v_dual_cndmask_b32 v16, v16, v12
	s_or_b32 exec_lo, exec_lo, s0
	s_mov_b32 s0, exec_lo
	s_delay_alu instid0(VALU_DEP_1)
	v_cmpx_lt_i64_e64 v[14:15], v[16:17]
	s_cbranch_execz .LBB24_23
.LBB24_27:
	v_mad_nc_u64_u32 v[18:19], 0x7f, v16, v[14:15]
	s_delay_alu instid0(VALU_DEP_1) | instskip(NEXT) | instid1(VALU_DEP_1)
	v_mad_u32 v19, 0x7f, v17, v19
	v_lshrrev_b64 v[18:19], 7, v[18:19]
	s_delay_alu instid0(VALU_DEP_1)
	v_lshl_add_u64 v[20:21], v[18:19], 2, s[2:3]
	global_load_b32 v22, v[20:21], off
	s_wait_xcnt 0x0
	v_add_nc_u64_e32 v[20:21], 1, v[18:19]
	s_wait_loadcnt 0x0
	v_cmp_lt_i32_e32 vcc_lo, v22, v1
	s_delay_alu instid0(VALU_DEP_2) | instskip(SKIP_2) | instid1(SALU_CYCLE_1)
	v_dual_cndmask_b32 v15, v15, v21 :: v_dual_cndmask_b32 v14, v14, v20
	v_dual_cndmask_b32 v17, v19, v17 :: v_dual_cndmask_b32 v16, v18, v16
	s_or_b32 exec_lo, exec_lo, s0
	s_mov_b32 s0, exec_lo
	s_delay_alu instid0(VALU_DEP_1)
	v_cmpx_lt_i64_e64 v[14:15], v[16:17]
	s_cbranch_execz .LBB24_24
.LBB24_28:
	v_mad_nc_u64_u32 v[18:19], v16, 31, v[14:15]
	s_delay_alu instid0(VALU_DEP_1) | instskip(NEXT) | instid1(VALU_DEP_1)
	v_mad_u32 v19, v17, 31, v19
	v_lshrrev_b64 v[18:19], 5, v[18:19]
	s_delay_alu instid0(VALU_DEP_1)
	v_lshl_add_u64 v[20:21], v[18:19], 2, s[2:3]
	global_load_b32 v22, v[20:21], off
	s_wait_xcnt 0x0
	v_add_nc_u64_e32 v[20:21], 1, v[18:19]
	s_wait_loadcnt 0x0
	v_cmp_lt_i32_e32 vcc_lo, v22, v1
	s_delay_alu instid0(VALU_DEP_2) | instskip(SKIP_2) | instid1(SALU_CYCLE_1)
	v_dual_cndmask_b32 v15, v15, v21 :: v_dual_cndmask_b32 v14, v14, v20
	v_dual_cndmask_b32 v17, v19, v17 :: v_dual_cndmask_b32 v16, v18, v16
	s_or_b32 exec_lo, exec_lo, s0
	s_mov_b32 s0, exec_lo
	s_delay_alu instid0(VALU_DEP_1)
	v_cmpx_lt_i64_e64 v[14:15], v[16:17]
	s_cbranch_execz .LBB24_25
.LBB24_29:
	v_mad_nc_u64_u32 v[18:19], v16, 15, v[14:15]
	s_delay_alu instid0(VALU_DEP_1) | instskip(NEXT) | instid1(VALU_DEP_1)
	v_mad_u32 v19, v17, 15, v19
	v_lshrrev_b64 v[18:19], 4, v[18:19]
	s_delay_alu instid0(VALU_DEP_1)
	v_lshl_add_u64 v[20:21], v[18:19], 2, s[2:3]
	global_load_b32 v22, v[20:21], off
	s_wait_xcnt 0x0
	v_add_nc_u64_e32 v[20:21], 1, v[18:19]
	s_wait_loadcnt 0x0
	v_cmp_lt_i32_e32 vcc_lo, v22, v1
	s_delay_alu instid0(VALU_DEP_2) | instskip(SKIP_2) | instid1(SALU_CYCLE_1)
	v_dual_cndmask_b32 v15, v15, v21 :: v_dual_cndmask_b32 v14, v14, v20
	v_dual_cndmask_b32 v17, v19, v17 :: v_dual_cndmask_b32 v16, v18, v16
	s_or_b32 exec_lo, exec_lo, s0
	s_mov_b32 s0, exec_lo
	s_delay_alu instid0(VALU_DEP_1)
	v_cmpx_lt_i64_e64 v[14:15], v[16:17]
	s_cbranch_execz .LBB24_33
.LBB24_30:
	s_mov_b32 s14, 0
.LBB24_31:                              ; =>This Inner Loop Header: Depth=1
	v_add_nc_u64_e32 v[18:19], v[14:15], v[16:17]
	s_delay_alu instid0(VALU_DEP_1) | instskip(NEXT) | instid1(VALU_DEP_1)
	v_lshrrev_b64 v[18:19], 1, v[18:19]
	v_lshl_add_u64 v[20:21], v[18:19], 2, s[2:3]
	global_load_b32 v22, v[20:21], off
	s_wait_xcnt 0x0
	v_add_nc_u64_e32 v[20:21], 1, v[18:19]
	s_wait_loadcnt 0x0
	v_cmp_lt_i32_e32 vcc_lo, v22, v1
	s_delay_alu instid0(VALU_DEP_2) | instskip(SKIP_1) | instid1(VALU_DEP_1)
	v_dual_cndmask_b32 v15, v15, v21 :: v_dual_cndmask_b32 v14, v14, v20
	v_dual_cndmask_b32 v17, v19, v17 :: v_dual_cndmask_b32 v16, v18, v16
	v_cmp_ge_i64_e32 vcc_lo, v[14:15], v[16:17]
	s_or_b32 s14, vcc_lo, s14
	s_delay_alu instid0(SALU_CYCLE_1)
	s_and_not1_b32 exec_lo, exec_lo, s14
	s_cbranch_execnz .LBB24_31
; %bb.32:
	s_or_b32 exec_lo, exec_lo, s14
.LBB24_33:
	s_delay_alu instid0(SALU_CYCLE_1) | instskip(SKIP_3) | instid1(VALU_DEP_1)
	s_or_b32 exec_lo, exec_lo, s0
	v_sub_nc_u64_e32 v[2:3], v[2:3], v[8:9]
	v_sub_nc_u64_e32 v[18:19], v[12:13], v[14:15]
	s_mov_b32 s0, exec_lo
	v_add_nc_u64_e32 v[16:17], v[18:19], v[2:3]
	s_delay_alu instid0(VALU_DEP_1) | instskip(NEXT) | instid1(VALU_DEP_1)
	v_ashrrev_i64 v[2:3], 1, v[16:17]
	v_max_i64 v[2:3], v[2:3], v[18:19]
	s_delay_alu instid0(VALU_DEP_1) | instskip(NEXT) | instid1(VALU_DEP_1)
	v_add_nc_u64_e32 v[14:15], v[14:15], v[2:3]
	v_add_nc_u64_e32 v[14:15], 1, v[14:15]
	s_delay_alu instid0(VALU_DEP_1) | instskip(NEXT) | instid1(VALU_DEP_1)
	v_min_i64 v[14:15], v[14:15], s[6:7]
	v_sub_nc_u64_e32 v[14:15], v[14:15], v[12:13]
	v_mov_b64_e32 v[12:13], 0
	s_delay_alu instid0(VALU_DEP_2)
	v_cmpx_lt_i64_e32 0, v[14:15]
	s_cbranch_execz .LBB24_37
; %bb.34:
	v_mov_b64_e32 v[12:13], 0
	s_mov_b32 s14, 0
.LBB24_35:                              ; =>This Inner Loop Header: Depth=1
	s_delay_alu instid0(VALU_DEP_1) | instskip(NEXT) | instid1(VALU_DEP_1)
	v_add_nc_u64_e32 v[20:21], v[12:13], v[14:15]
	v_lshrrev_b64 v[20:21], 1, v[20:21]
	s_delay_alu instid0(VALU_DEP_1)
	v_lshl_add_u64 v[22:23], v[20:21], 2, v[10:11]
	global_load_b32 v24, v[22:23], off
	s_wait_xcnt 0x0
	v_add_nc_u64_e32 v[22:23], 1, v[20:21]
	s_wait_loadcnt 0x0
	v_cmp_lt_i32_e32 vcc_lo, v1, v24
	s_delay_alu instid0(VALU_DEP_2) | instskip(SKIP_1) | instid1(VALU_DEP_1)
	v_dual_cndmask_b32 v13, v23, v13 :: v_dual_cndmask_b32 v12, v22, v12
	v_dual_cndmask_b32 v15, v15, v21 :: v_dual_cndmask_b32 v14, v14, v20
	v_cmp_ge_i64_e32 vcc_lo, v[12:13], v[14:15]
	s_or_b32 s14, vcc_lo, s14
	s_delay_alu instid0(SALU_CYCLE_1)
	s_and_not1_b32 exec_lo, exec_lo, s14
	s_cbranch_execnz .LBB24_35
; %bb.36:
	s_or_b32 exec_lo, exec_lo, s14
	v_ashrrev_i32_e32 v13, 31, v12
.LBB24_37:
	s_or_b32 exec_lo, exec_lo, s0
	s_delay_alu instid0(VALU_DEP_1) | instskip(SKIP_1) | instid1(VALU_DEP_1)
	v_add_nc_u64_e32 v[10:11], v[12:13], v[18:19]
	s_mov_b32 s14, 0
	v_min_i64 v[12:13], v[10:11], v[2:3]
	v_cmp_lt_i64_e32 vcc_lo, v[2:3], v[10:11]
	s_delay_alu instid0(VALU_DEP_2) | instskip(SKIP_1) | instid1(VALU_DEP_2)
	v_sub_nc_u64_e32 v[14:15], v[16:17], v[12:13]
	v_add_nc_u64_e32 v[12:13], 1, v[12:13]
	v_add_nc_u64_e32 v[2:3], v[14:15], v[8:9]
	s_delay_alu instid0(VALU_DEP_2) | instskip(SKIP_2) | instid1(SALU_CYCLE_1)
	v_cmp_eq_u64_e64 s0, v[14:15], v[12:13]
	v_mov_b32_e32 v9, s14
	s_and_b32 s0, s0, vcc_lo
	v_cndmask_b32_e64 v8, 0, 1, s0
.LBB24_38:
	s_or_b32 exec_lo, exec_lo, s13
	s_delay_alu instid0(VALU_DEP_1) | instskip(SKIP_1) | instid1(VALU_DEP_2)
	v_add_nc_u64_e32 v[4:5], v[8:9], v[4:5]
	v_lshl_add_u64 v[6:7], v[6:7], 4, s[8:9]
	v_sub_nc_u64_e32 v[4:5], v[4:5], v[2:3]
	global_store_b128 v[6:7], v[2:5], off
.LBB24_39:
	s_wait_xcnt 0x0
	s_or_b32 exec_lo, exec_lo, s12
	s_cbranch_execnz .LBB24_2
.LBB24_40:
	v_dual_mov_b32 v5, 0 :: v_dual_add_nc_u32 v4, s1, v0
	s_add_nc_u64 s[0:1], s[6:7], s[4:5]
	s_wait_loadcnt 0x0
	s_delay_alu instid0(VALU_DEP_1) | instskip(NEXT) | instid1(VALU_DEP_1)
	v_mul_u64_e32 v[0:1], 0xfff, v[4:5]
	v_min_i64 v[2:3], s[0:1], v[0:1]
	s_mov_b32 s0, exec_lo
	s_delay_alu instid0(VALU_DEP_1) | instskip(SKIP_1) | instid1(VALU_DEP_2)
	v_sub_nc_u64_e64 v[0:1], v[2:3], s[6:7]
	v_min_i64 v[6:7], s[4:5], v[2:3]
	v_max_i64 v[0:1], v[0:1], 0
	s_delay_alu instid0(VALU_DEP_1)
	v_cmpx_lt_i64_e64 v[0:1], v[6:7]
	s_cbranch_execz .LBB24_44
; %bb.41:
	v_lshl_add_u64 v[8:9], v[2:3], 2, s[2:3]
	s_mov_b32 s1, 0
.LBB24_42:                              ; =>This Inner Loop Header: Depth=1
	v_add_nc_u64_e32 v[10:11], v[6:7], v[0:1]
	s_delay_alu instid0(VALU_DEP_1) | instskip(NEXT) | instid1(VALU_DEP_1)
	v_lshrrev_b64 v[10:11], 1, v[10:11]
	v_lshlrev_b64_e32 v[12:13], 2, v[10:11]
	s_delay_alu instid0(VALU_DEP_1) | instskip(NEXT) | instid1(VALU_DEP_2)
	v_xor_b32_e32 v15, -1, v13
	v_xor_b32_e32 v14, -4, v12
	v_add_nc_u64_e32 v[12:13], s[10:11], v[12:13]
	s_delay_alu instid0(VALU_DEP_2)
	v_add_nc_u64_e32 v[14:15], v[8:9], v[14:15]
	global_load_b32 v16, v[12:13], off
	global_load_b32 v17, v[14:15], off
	s_wait_xcnt 0x1
	v_add_nc_u64_e32 v[12:13], 1, v[10:11]
	s_wait_loadcnt 0x0
	v_cmp_lt_i32_e32 vcc_lo, v17, v16
	v_dual_cndmask_b32 v7, v7, v11 :: v_dual_cndmask_b32 v6, v6, v10
	s_delay_alu instid0(VALU_DEP_3) | instskip(NEXT) | instid1(VALU_DEP_1)
	v_dual_cndmask_b32 v1, v13, v1 :: v_dual_cndmask_b32 v0, v12, v0
	v_cmp_ge_i64_e32 vcc_lo, v[0:1], v[6:7]
	s_or_b32 s1, vcc_lo, s1
	s_wait_xcnt 0x0
	s_and_not1_b32 exec_lo, exec_lo, s1
	s_cbranch_execnz .LBB24_42
; %bb.43:
	s_or_b32 exec_lo, exec_lo, s1
.LBB24_44:
	s_delay_alu instid0(SALU_CYCLE_1) | instskip(SKIP_3) | instid1(VALU_DEP_2)
	s_or_b32 exec_lo, exec_lo, s0
	v_sub_nc_u64_e32 v[10:11], v[2:3], v[0:1]
	v_mov_b64_e32 v[6:7], 0
	s_mov_b32 s1, exec_lo
	v_cmpx_gt_i64_e64 s[6:7], v[10:11]
	s_cbranch_execz .LBB24_74
; %bb.45:
	v_lshl_add_u64 v[8:9], v[10:11], 2, s[2:3]
	v_mov_b64_e32 v[6:7], 0
	v_mov_b64_e32 v[12:13], 0
	s_mov_b32 s0, exec_lo
	global_load_b32 v18, v[8:9], off
	s_wait_xcnt 0x0
	v_cmpx_lt_i64_e32 0, v[0:1]
	s_cbranch_execnz .LBB24_50
; %bb.46:
	s_or_b32 exec_lo, exec_lo, s0
	s_delay_alu instid0(SALU_CYCLE_1)
	s_mov_b32 s0, exec_lo
	v_cmpx_lt_u64_e64 v[6:7], v[12:13]
	s_cbranch_execnz .LBB24_51
.LBB24_47:
	s_or_b32 exec_lo, exec_lo, s0
	s_delay_alu instid0(SALU_CYCLE_1)
	s_mov_b32 s0, exec_lo
	v_cmpx_lt_u64_e64 v[6:7], v[12:13]
	s_cbranch_execnz .LBB24_52
.LBB24_48:
	s_or_b32 exec_lo, exec_lo, s0
	s_delay_alu instid0(SALU_CYCLE_1)
	s_mov_b32 s0, exec_lo
	v_cmpx_lt_u64_e64 v[6:7], v[12:13]
	s_cbranch_execnz .LBB24_53
.LBB24_49:
	s_or_b32 exec_lo, exec_lo, s0
	s_delay_alu instid0(SALU_CYCLE_1)
	s_mov_b32 s0, exec_lo
	v_cmpx_lt_u64_e64 v[6:7], v[12:13]
	s_cbranch_execnz .LBB24_54
	s_branch .LBB24_57
.LBB24_50:
	v_mul_u64_e32 v[6:7], 0x1ff, v[0:1]
	s_delay_alu instid0(VALU_DEP_1) | instskip(NEXT) | instid1(VALU_DEP_1)
	v_lshrrev_b64 v[12:13], 9, v[6:7]
	v_lshl_add_u64 v[6:7], v[12:13], 2, s[10:11]
	global_load_b32 v14, v[6:7], off
	s_wait_xcnt 0x0
	v_add_nc_u64_e32 v[6:7], 1, v[12:13]
	s_wait_loadcnt 0x0
	v_cmp_lt_i32_e32 vcc_lo, v14, v18
	s_delay_alu instid0(VALU_DEP_2) | instskip(SKIP_2) | instid1(SALU_CYCLE_1)
	v_dual_cndmask_b32 v7, 0, v7 :: v_dual_cndmask_b32 v6, 0, v6
	v_dual_cndmask_b32 v13, v13, v1 :: v_dual_cndmask_b32 v12, v12, v0
	s_or_b32 exec_lo, exec_lo, s0
	s_mov_b32 s0, exec_lo
	s_delay_alu instid0(VALU_DEP_1)
	v_cmpx_lt_u64_e64 v[6:7], v[12:13]
	s_cbranch_execz .LBB24_47
.LBB24_51:
	v_mad_nc_u64_u32 v[14:15], 0x7f, v12, v[6:7]
	s_delay_alu instid0(VALU_DEP_1) | instskip(NEXT) | instid1(VALU_DEP_1)
	v_mad_u32 v15, 0x7f, v13, v15
	v_lshrrev_b64 v[14:15], 7, v[14:15]
	s_delay_alu instid0(VALU_DEP_1)
	v_lshl_add_u64 v[16:17], v[14:15], 2, s[10:11]
	global_load_b32 v19, v[16:17], off
	s_wait_xcnt 0x0
	v_add_nc_u64_e32 v[16:17], 1, v[14:15]
	s_wait_loadcnt 0x0
	v_cmp_lt_i32_e32 vcc_lo, v19, v18
	s_delay_alu instid0(VALU_DEP_2) | instskip(SKIP_2) | instid1(SALU_CYCLE_1)
	v_dual_cndmask_b32 v7, v7, v17 :: v_dual_cndmask_b32 v6, v6, v16
	v_dual_cndmask_b32 v13, v15, v13 :: v_dual_cndmask_b32 v12, v14, v12
	s_or_b32 exec_lo, exec_lo, s0
	s_mov_b32 s0, exec_lo
	s_delay_alu instid0(VALU_DEP_1)
	v_cmpx_lt_u64_e64 v[6:7], v[12:13]
	s_cbranch_execz .LBB24_48
.LBB24_52:
	v_mad_nc_u64_u32 v[14:15], v12, 31, v[6:7]
	s_delay_alu instid0(VALU_DEP_1) | instskip(NEXT) | instid1(VALU_DEP_1)
	v_mad_u32 v15, v13, 31, v15
	v_lshrrev_b64 v[14:15], 5, v[14:15]
	s_delay_alu instid0(VALU_DEP_1)
	v_lshl_add_u64 v[16:17], v[14:15], 2, s[10:11]
	global_load_b32 v19, v[16:17], off
	s_wait_xcnt 0x0
	v_add_nc_u64_e32 v[16:17], 1, v[14:15]
	s_wait_loadcnt 0x0
	v_cmp_lt_i32_e32 vcc_lo, v19, v18
	s_delay_alu instid0(VALU_DEP_2) | instskip(SKIP_2) | instid1(SALU_CYCLE_1)
	v_dual_cndmask_b32 v7, v7, v17 :: v_dual_cndmask_b32 v6, v6, v16
	v_dual_cndmask_b32 v13, v15, v13 :: v_dual_cndmask_b32 v12, v14, v12
	s_or_b32 exec_lo, exec_lo, s0
	s_mov_b32 s0, exec_lo
	s_delay_alu instid0(VALU_DEP_1)
	v_cmpx_lt_u64_e64 v[6:7], v[12:13]
	s_cbranch_execz .LBB24_49
.LBB24_53:
	v_mad_nc_u64_u32 v[14:15], v12, 15, v[6:7]
	s_delay_alu instid0(VALU_DEP_1) | instskip(NEXT) | instid1(VALU_DEP_1)
	v_mad_u32 v15, v13, 15, v15
	v_lshrrev_b64 v[14:15], 4, v[14:15]
	s_delay_alu instid0(VALU_DEP_1)
	v_lshl_add_u64 v[16:17], v[14:15], 2, s[10:11]
	global_load_b32 v19, v[16:17], off
	s_wait_xcnt 0x0
	v_add_nc_u64_e32 v[16:17], 1, v[14:15]
	s_wait_loadcnt 0x0
	v_cmp_lt_i32_e32 vcc_lo, v19, v18
	s_delay_alu instid0(VALU_DEP_2) | instskip(SKIP_2) | instid1(SALU_CYCLE_1)
	v_dual_cndmask_b32 v7, v7, v17 :: v_dual_cndmask_b32 v6, v6, v16
	v_dual_cndmask_b32 v13, v15, v13 :: v_dual_cndmask_b32 v12, v14, v12
	s_or_b32 exec_lo, exec_lo, s0
	s_mov_b32 s0, exec_lo
	s_delay_alu instid0(VALU_DEP_1)
	v_cmpx_lt_u64_e64 v[6:7], v[12:13]
	s_cbranch_execz .LBB24_57
.LBB24_54:
	s_mov_b32 s4, 0
.LBB24_55:                              ; =>This Inner Loop Header: Depth=1
	v_add_nc_u64_e32 v[14:15], v[6:7], v[12:13]
	s_delay_alu instid0(VALU_DEP_1) | instskip(NEXT) | instid1(VALU_DEP_1)
	v_lshrrev_b64 v[14:15], 1, v[14:15]
	v_lshl_add_u64 v[16:17], v[14:15], 2, s[10:11]
	global_load_b32 v19, v[16:17], off
	s_wait_xcnt 0x0
	v_add_nc_u64_e32 v[16:17], 1, v[14:15]
	s_wait_loadcnt 0x0
	v_cmp_lt_i32_e32 vcc_lo, v19, v18
	s_delay_alu instid0(VALU_DEP_2) | instskip(SKIP_1) | instid1(VALU_DEP_1)
	v_dual_cndmask_b32 v7, v7, v17 :: v_dual_cndmask_b32 v6, v6, v16
	v_dual_cndmask_b32 v13, v15, v13 :: v_dual_cndmask_b32 v12, v14, v12
	v_cmp_ge_i64_e32 vcc_lo, v[6:7], v[12:13]
	s_or_b32 s4, vcc_lo, s4
	s_delay_alu instid0(SALU_CYCLE_1)
	s_and_not1_b32 exec_lo, exec_lo, s4
	s_cbranch_execnz .LBB24_55
; %bb.56:
	s_or_b32 exec_lo, exec_lo, s4
.LBB24_57:
	s_delay_alu instid0(SALU_CYCLE_1)
	s_or_b32 exec_lo, exec_lo, s0
	v_mov_b64_e32 v[12:13], 0
	v_mov_b64_e32 v[14:15], v[10:11]
	s_mov_b32 s0, exec_lo
	v_cmpx_lt_i64_e32 0, v[10:11]
	s_cbranch_execnz .LBB24_62
; %bb.58:
	s_or_b32 exec_lo, exec_lo, s0
	s_delay_alu instid0(SALU_CYCLE_1) | instskip(NEXT) | instid1(VALU_DEP_2)
	s_mov_b32 s0, exec_lo
	v_cmpx_lt_i64_e64 v[12:13], v[14:15]
	s_cbranch_execnz .LBB24_63
.LBB24_59:
	s_or_b32 exec_lo, exec_lo, s0
	s_delay_alu instid0(SALU_CYCLE_1)
	s_mov_b32 s0, exec_lo
	v_cmpx_lt_i64_e64 v[12:13], v[14:15]
	s_cbranch_execnz .LBB24_64
.LBB24_60:
	s_or_b32 exec_lo, exec_lo, s0
	s_delay_alu instid0(SALU_CYCLE_1)
	s_mov_b32 s0, exec_lo
	v_cmpx_lt_i64_e64 v[12:13], v[14:15]
	s_cbranch_execnz .LBB24_65
.LBB24_61:
	s_or_b32 exec_lo, exec_lo, s0
	s_delay_alu instid0(SALU_CYCLE_1)
	s_mov_b32 s0, exec_lo
	v_cmpx_lt_i64_e64 v[12:13], v[14:15]
	s_cbranch_execnz .LBB24_66
	s_branch .LBB24_69
.LBB24_62:
	v_mul_u64_e32 v[12:13], 0x1ff, v[10:11]
	s_delay_alu instid0(VALU_DEP_1) | instskip(NEXT) | instid1(VALU_DEP_1)
	v_lshrrev_b64 v[14:15], 9, v[12:13]
	v_lshl_add_u64 v[12:13], v[14:15], 2, s[2:3]
	global_load_b32 v16, v[12:13], off
	s_wait_xcnt 0x0
	v_add_nc_u64_e32 v[12:13], 1, v[14:15]
	s_wait_loadcnt 0x0
	v_cmp_lt_i32_e32 vcc_lo, v16, v18
	s_delay_alu instid0(VALU_DEP_2) | instskip(SKIP_2) | instid1(SALU_CYCLE_1)
	v_dual_cndmask_b32 v13, 0, v13 :: v_dual_cndmask_b32 v12, 0, v12
	v_dual_cndmask_b32 v15, v15, v11 :: v_dual_cndmask_b32 v14, v14, v10
	s_or_b32 exec_lo, exec_lo, s0
	s_mov_b32 s0, exec_lo
	s_delay_alu instid0(VALU_DEP_1)
	v_cmpx_lt_i64_e64 v[12:13], v[14:15]
	s_cbranch_execz .LBB24_59
.LBB24_63:
	v_mad_nc_u64_u32 v[16:17], 0x7f, v14, v[12:13]
	s_delay_alu instid0(VALU_DEP_1) | instskip(NEXT) | instid1(VALU_DEP_1)
	v_mad_u32 v17, 0x7f, v15, v17
	v_lshrrev_b64 v[16:17], 7, v[16:17]
	s_delay_alu instid0(VALU_DEP_1)
	v_lshl_add_u64 v[20:21], v[16:17], 2, s[2:3]
	global_load_b32 v19, v[20:21], off
	s_wait_xcnt 0x0
	v_add_nc_u64_e32 v[20:21], 1, v[16:17]
	s_wait_loadcnt 0x0
	v_cmp_lt_i32_e32 vcc_lo, v19, v18
	s_delay_alu instid0(VALU_DEP_2) | instskip(SKIP_2) | instid1(SALU_CYCLE_1)
	v_dual_cndmask_b32 v13, v13, v21 :: v_dual_cndmask_b32 v12, v12, v20
	v_dual_cndmask_b32 v15, v17, v15 :: v_dual_cndmask_b32 v14, v16, v14
	s_or_b32 exec_lo, exec_lo, s0
	s_mov_b32 s0, exec_lo
	s_delay_alu instid0(VALU_DEP_1)
	v_cmpx_lt_i64_e64 v[12:13], v[14:15]
	s_cbranch_execz .LBB24_60
.LBB24_64:
	v_mad_nc_u64_u32 v[16:17], v14, 31, v[12:13]
	s_delay_alu instid0(VALU_DEP_1) | instskip(NEXT) | instid1(VALU_DEP_1)
	v_mad_u32 v17, v15, 31, v17
	v_lshrrev_b64 v[16:17], 5, v[16:17]
	s_delay_alu instid0(VALU_DEP_1)
	v_lshl_add_u64 v[20:21], v[16:17], 2, s[2:3]
	global_load_b32 v19, v[20:21], off
	s_wait_xcnt 0x0
	v_add_nc_u64_e32 v[20:21], 1, v[16:17]
	s_wait_loadcnt 0x0
	v_cmp_lt_i32_e32 vcc_lo, v19, v18
	s_delay_alu instid0(VALU_DEP_2) | instskip(SKIP_2) | instid1(SALU_CYCLE_1)
	v_dual_cndmask_b32 v13, v13, v21 :: v_dual_cndmask_b32 v12, v12, v20
	v_dual_cndmask_b32 v15, v17, v15 :: v_dual_cndmask_b32 v14, v16, v14
	s_or_b32 exec_lo, exec_lo, s0
	s_mov_b32 s0, exec_lo
	s_delay_alu instid0(VALU_DEP_1)
	v_cmpx_lt_i64_e64 v[12:13], v[14:15]
	s_cbranch_execz .LBB24_61
.LBB24_65:
	v_mad_nc_u64_u32 v[16:17], v14, 15, v[12:13]
	s_delay_alu instid0(VALU_DEP_1) | instskip(NEXT) | instid1(VALU_DEP_1)
	v_mad_u32 v17, v15, 15, v17
	v_lshrrev_b64 v[16:17], 4, v[16:17]
	s_delay_alu instid0(VALU_DEP_1)
	v_lshl_add_u64 v[20:21], v[16:17], 2, s[2:3]
	global_load_b32 v19, v[20:21], off
	s_wait_xcnt 0x0
	v_add_nc_u64_e32 v[20:21], 1, v[16:17]
	s_wait_loadcnt 0x0
	v_cmp_lt_i32_e32 vcc_lo, v19, v18
	s_delay_alu instid0(VALU_DEP_2) | instskip(SKIP_2) | instid1(SALU_CYCLE_1)
	v_dual_cndmask_b32 v13, v13, v21 :: v_dual_cndmask_b32 v12, v12, v20
	v_dual_cndmask_b32 v15, v17, v15 :: v_dual_cndmask_b32 v14, v16, v14
	s_or_b32 exec_lo, exec_lo, s0
	s_mov_b32 s0, exec_lo
	s_delay_alu instid0(VALU_DEP_1)
	v_cmpx_lt_i64_e64 v[12:13], v[14:15]
	s_cbranch_execz .LBB24_69
.LBB24_66:
	s_mov_b32 s4, 0
.LBB24_67:                              ; =>This Inner Loop Header: Depth=1
	v_add_nc_u64_e32 v[16:17], v[12:13], v[14:15]
	s_delay_alu instid0(VALU_DEP_1) | instskip(NEXT) | instid1(VALU_DEP_1)
	v_lshrrev_b64 v[16:17], 1, v[16:17]
	v_lshl_add_u64 v[20:21], v[16:17], 2, s[2:3]
	global_load_b32 v19, v[20:21], off
	s_wait_xcnt 0x0
	v_add_nc_u64_e32 v[20:21], 1, v[16:17]
	s_wait_loadcnt 0x0
	v_cmp_lt_i32_e32 vcc_lo, v19, v18
	s_delay_alu instid0(VALU_DEP_2) | instskip(SKIP_1) | instid1(VALU_DEP_1)
	v_dual_cndmask_b32 v13, v13, v21 :: v_dual_cndmask_b32 v12, v12, v20
	v_dual_cndmask_b32 v15, v17, v15 :: v_dual_cndmask_b32 v14, v16, v14
	v_cmp_ge_i64_e32 vcc_lo, v[12:13], v[14:15]
	s_or_b32 s4, vcc_lo, s4
	s_delay_alu instid0(SALU_CYCLE_1)
	s_and_not1_b32 exec_lo, exec_lo, s4
	s_cbranch_execnz .LBB24_67
; %bb.68:
	s_or_b32 exec_lo, exec_lo, s4
.LBB24_69:
	s_delay_alu instid0(SALU_CYCLE_1) | instskip(SKIP_3) | instid1(VALU_DEP_1)
	s_or_b32 exec_lo, exec_lo, s0
	v_sub_nc_u64_e32 v[0:1], v[0:1], v[6:7]
	v_sub_nc_u64_e32 v[16:17], v[10:11], v[12:13]
	s_mov_b32 s0, exec_lo
	v_add_nc_u64_e32 v[14:15], v[16:17], v[0:1]
	s_delay_alu instid0(VALU_DEP_1) | instskip(NEXT) | instid1(VALU_DEP_1)
	v_ashrrev_i64 v[0:1], 1, v[14:15]
	v_max_i64 v[0:1], v[0:1], v[16:17]
	s_delay_alu instid0(VALU_DEP_1) | instskip(NEXT) | instid1(VALU_DEP_1)
	v_add_nc_u64_e32 v[12:13], v[12:13], v[0:1]
	v_add_nc_u64_e32 v[12:13], 1, v[12:13]
	s_delay_alu instid0(VALU_DEP_1) | instskip(NEXT) | instid1(VALU_DEP_1)
	v_min_i64 v[12:13], v[12:13], s[6:7]
	v_sub_nc_u64_e32 v[12:13], v[12:13], v[10:11]
	v_mov_b64_e32 v[10:11], 0
	s_delay_alu instid0(VALU_DEP_2)
	v_cmpx_lt_i64_e32 0, v[12:13]
	s_cbranch_execz .LBB24_73
; %bb.70:
	v_mov_b64_e32 v[10:11], 0
	s_mov_b32 s2, 0
.LBB24_71:                              ; =>This Inner Loop Header: Depth=1
	s_delay_alu instid0(VALU_DEP_1) | instskip(NEXT) | instid1(VALU_DEP_1)
	v_add_nc_u64_e32 v[20:21], v[10:11], v[12:13]
	v_lshrrev_b64 v[20:21], 1, v[20:21]
	s_delay_alu instid0(VALU_DEP_1)
	v_lshl_add_u64 v[22:23], v[20:21], 2, v[8:9]
	global_load_b32 v19, v[22:23], off
	s_wait_xcnt 0x0
	v_add_nc_u64_e32 v[22:23], 1, v[20:21]
	s_wait_loadcnt 0x0
	v_cmp_lt_i32_e32 vcc_lo, v18, v19
	s_delay_alu instid0(VALU_DEP_2) | instskip(SKIP_1) | instid1(VALU_DEP_1)
	v_dual_cndmask_b32 v11, v23, v11 :: v_dual_cndmask_b32 v10, v22, v10
	v_dual_cndmask_b32 v13, v13, v21 :: v_dual_cndmask_b32 v12, v12, v20
	v_cmp_ge_i64_e32 vcc_lo, v[10:11], v[12:13]
	s_or_b32 s2, vcc_lo, s2
	s_delay_alu instid0(SALU_CYCLE_1)
	s_and_not1_b32 exec_lo, exec_lo, s2
	s_cbranch_execnz .LBB24_71
; %bb.72:
	s_or_b32 exec_lo, exec_lo, s2
	v_ashrrev_i32_e32 v11, 31, v10
.LBB24_73:
	s_or_b32 exec_lo, exec_lo, s0
	s_delay_alu instid0(VALU_DEP_1) | instskip(SKIP_1) | instid1(VALU_DEP_1)
	v_add_nc_u64_e32 v[8:9], v[10:11], v[16:17]
	s_mov_b32 s2, 0
	v_min_i64 v[10:11], v[8:9], v[0:1]
	v_cmp_lt_i64_e32 vcc_lo, v[0:1], v[8:9]
	s_delay_alu instid0(VALU_DEP_2) | instskip(SKIP_1) | instid1(VALU_DEP_2)
	v_sub_nc_u64_e32 v[12:13], v[14:15], v[10:11]
	v_add_nc_u64_e32 v[10:11], 1, v[10:11]
	v_add_nc_u64_e32 v[0:1], v[12:13], v[6:7]
	s_delay_alu instid0(VALU_DEP_2) | instskip(SKIP_2) | instid1(SALU_CYCLE_1)
	v_cmp_eq_u64_e64 s0, v[12:13], v[10:11]
	v_mov_b32_e32 v7, s2
	s_and_b32 s0, s0, vcc_lo
	v_cndmask_b32_e64 v6, 0, 1, s0
.LBB24_74:
	s_or_b32 exec_lo, exec_lo, s1
	s_delay_alu instid0(VALU_DEP_1) | instskip(SKIP_1) | instid1(VALU_DEP_2)
	v_add_nc_u64_e32 v[2:3], v[6:7], v[2:3]
	v_lshl_add_u64 v[4:5], v[4:5], 4, s[8:9]
	v_sub_nc_u64_e32 v[2:3], v[2:3], v[0:1]
	global_store_b128 v[4:5], v[0:3], off
	s_endpgm
	.section	.rodata,"a",@progbits
	.p2align	6, 0x0
	.amdhsa_kernel _ZN6thrust23THRUST_200600_302600_NS11hip_rocprim14__parallel_for6kernelILj256EZNS1_16__set_operations9doit_stepILb0ENS0_6detail15normal_iteratorINS0_10device_ptrIKiEEEESB_PiSC_lNS7_INS8_IiEEEESC_NS0_4lessIiEENS4_21serial_set_differenceEEE10hipError_tPvRmT0_T1_T2_T3_T4_SP_T5_T6_PSP_T7_T8_P12ihipStream_tbEUllE_jLj1EEEvSL_SM_SM_
		.amdhsa_group_segment_fixed_size 0
		.amdhsa_private_segment_fixed_size 0
		.amdhsa_kernarg_size 56
		.amdhsa_user_sgpr_count 2
		.amdhsa_user_sgpr_dispatch_ptr 0
		.amdhsa_user_sgpr_queue_ptr 0
		.amdhsa_user_sgpr_kernarg_segment_ptr 1
		.amdhsa_user_sgpr_dispatch_id 0
		.amdhsa_user_sgpr_kernarg_preload_length 0
		.amdhsa_user_sgpr_kernarg_preload_offset 0
		.amdhsa_user_sgpr_private_segment_size 0
		.amdhsa_wavefront_size32 1
		.amdhsa_uses_dynamic_stack 0
		.amdhsa_enable_private_segment 0
		.amdhsa_system_sgpr_workgroup_id_x 1
		.amdhsa_system_sgpr_workgroup_id_y 0
		.amdhsa_system_sgpr_workgroup_id_z 0
		.amdhsa_system_sgpr_workgroup_info 0
		.amdhsa_system_vgpr_workitem_id 0
		.amdhsa_next_free_vgpr 25
		.amdhsa_next_free_sgpr 16
		.amdhsa_named_barrier_count 0
		.amdhsa_reserve_vcc 1
		.amdhsa_float_round_mode_32 0
		.amdhsa_float_round_mode_16_64 0
		.amdhsa_float_denorm_mode_32 3
		.amdhsa_float_denorm_mode_16_64 3
		.amdhsa_fp16_overflow 0
		.amdhsa_memory_ordered 1
		.amdhsa_forward_progress 1
		.amdhsa_inst_pref_size 32
		.amdhsa_round_robin_scheduling 0
		.amdhsa_exception_fp_ieee_invalid_op 0
		.amdhsa_exception_fp_denorm_src 0
		.amdhsa_exception_fp_ieee_div_zero 0
		.amdhsa_exception_fp_ieee_overflow 0
		.amdhsa_exception_fp_ieee_underflow 0
		.amdhsa_exception_fp_ieee_inexact 0
		.amdhsa_exception_int_div_zero 0
	.end_amdhsa_kernel
	.section	.text._ZN6thrust23THRUST_200600_302600_NS11hip_rocprim14__parallel_for6kernelILj256EZNS1_16__set_operations9doit_stepILb0ENS0_6detail15normal_iteratorINS0_10device_ptrIKiEEEESB_PiSC_lNS7_INS8_IiEEEESC_NS0_4lessIiEENS4_21serial_set_differenceEEE10hipError_tPvRmT0_T1_T2_T3_T4_SP_T5_T6_PSP_T7_T8_P12ihipStream_tbEUllE_jLj1EEEvSL_SM_SM_,"axG",@progbits,_ZN6thrust23THRUST_200600_302600_NS11hip_rocprim14__parallel_for6kernelILj256EZNS1_16__set_operations9doit_stepILb0ENS0_6detail15normal_iteratorINS0_10device_ptrIKiEEEESB_PiSC_lNS7_INS8_IiEEEESC_NS0_4lessIiEENS4_21serial_set_differenceEEE10hipError_tPvRmT0_T1_T2_T3_T4_SP_T5_T6_PSP_T7_T8_P12ihipStream_tbEUllE_jLj1EEEvSL_SM_SM_,comdat
.Lfunc_end24:
	.size	_ZN6thrust23THRUST_200600_302600_NS11hip_rocprim14__parallel_for6kernelILj256EZNS1_16__set_operations9doit_stepILb0ENS0_6detail15normal_iteratorINS0_10device_ptrIKiEEEESB_PiSC_lNS7_INS8_IiEEEESC_NS0_4lessIiEENS4_21serial_set_differenceEEE10hipError_tPvRmT0_T1_T2_T3_T4_SP_T5_T6_PSP_T7_T8_P12ihipStream_tbEUllE_jLj1EEEvSL_SM_SM_, .Lfunc_end24-_ZN6thrust23THRUST_200600_302600_NS11hip_rocprim14__parallel_for6kernelILj256EZNS1_16__set_operations9doit_stepILb0ENS0_6detail15normal_iteratorINS0_10device_ptrIKiEEEESB_PiSC_lNS7_INS8_IiEEEESC_NS0_4lessIiEENS4_21serial_set_differenceEEE10hipError_tPvRmT0_T1_T2_T3_T4_SP_T5_T6_PSP_T7_T8_P12ihipStream_tbEUllE_jLj1EEEvSL_SM_SM_
                                        ; -- End function
	.set _ZN6thrust23THRUST_200600_302600_NS11hip_rocprim14__parallel_for6kernelILj256EZNS1_16__set_operations9doit_stepILb0ENS0_6detail15normal_iteratorINS0_10device_ptrIKiEEEESB_PiSC_lNS7_INS8_IiEEEESC_NS0_4lessIiEENS4_21serial_set_differenceEEE10hipError_tPvRmT0_T1_T2_T3_T4_SP_T5_T6_PSP_T7_T8_P12ihipStream_tbEUllE_jLj1EEEvSL_SM_SM_.num_vgpr, 25
	.set _ZN6thrust23THRUST_200600_302600_NS11hip_rocprim14__parallel_for6kernelILj256EZNS1_16__set_operations9doit_stepILb0ENS0_6detail15normal_iteratorINS0_10device_ptrIKiEEEESB_PiSC_lNS7_INS8_IiEEEESC_NS0_4lessIiEENS4_21serial_set_differenceEEE10hipError_tPvRmT0_T1_T2_T3_T4_SP_T5_T6_PSP_T7_T8_P12ihipStream_tbEUllE_jLj1EEEvSL_SM_SM_.num_agpr, 0
	.set _ZN6thrust23THRUST_200600_302600_NS11hip_rocprim14__parallel_for6kernelILj256EZNS1_16__set_operations9doit_stepILb0ENS0_6detail15normal_iteratorINS0_10device_ptrIKiEEEESB_PiSC_lNS7_INS8_IiEEEESC_NS0_4lessIiEENS4_21serial_set_differenceEEE10hipError_tPvRmT0_T1_T2_T3_T4_SP_T5_T6_PSP_T7_T8_P12ihipStream_tbEUllE_jLj1EEEvSL_SM_SM_.numbered_sgpr, 16
	.set _ZN6thrust23THRUST_200600_302600_NS11hip_rocprim14__parallel_for6kernelILj256EZNS1_16__set_operations9doit_stepILb0ENS0_6detail15normal_iteratorINS0_10device_ptrIKiEEEESB_PiSC_lNS7_INS8_IiEEEESC_NS0_4lessIiEENS4_21serial_set_differenceEEE10hipError_tPvRmT0_T1_T2_T3_T4_SP_T5_T6_PSP_T7_T8_P12ihipStream_tbEUllE_jLj1EEEvSL_SM_SM_.num_named_barrier, 0
	.set _ZN6thrust23THRUST_200600_302600_NS11hip_rocprim14__parallel_for6kernelILj256EZNS1_16__set_operations9doit_stepILb0ENS0_6detail15normal_iteratorINS0_10device_ptrIKiEEEESB_PiSC_lNS7_INS8_IiEEEESC_NS0_4lessIiEENS4_21serial_set_differenceEEE10hipError_tPvRmT0_T1_T2_T3_T4_SP_T5_T6_PSP_T7_T8_P12ihipStream_tbEUllE_jLj1EEEvSL_SM_SM_.private_seg_size, 0
	.set _ZN6thrust23THRUST_200600_302600_NS11hip_rocprim14__parallel_for6kernelILj256EZNS1_16__set_operations9doit_stepILb0ENS0_6detail15normal_iteratorINS0_10device_ptrIKiEEEESB_PiSC_lNS7_INS8_IiEEEESC_NS0_4lessIiEENS4_21serial_set_differenceEEE10hipError_tPvRmT0_T1_T2_T3_T4_SP_T5_T6_PSP_T7_T8_P12ihipStream_tbEUllE_jLj1EEEvSL_SM_SM_.uses_vcc, 1
	.set _ZN6thrust23THRUST_200600_302600_NS11hip_rocprim14__parallel_for6kernelILj256EZNS1_16__set_operations9doit_stepILb0ENS0_6detail15normal_iteratorINS0_10device_ptrIKiEEEESB_PiSC_lNS7_INS8_IiEEEESC_NS0_4lessIiEENS4_21serial_set_differenceEEE10hipError_tPvRmT0_T1_T2_T3_T4_SP_T5_T6_PSP_T7_T8_P12ihipStream_tbEUllE_jLj1EEEvSL_SM_SM_.uses_flat_scratch, 0
	.set _ZN6thrust23THRUST_200600_302600_NS11hip_rocprim14__parallel_for6kernelILj256EZNS1_16__set_operations9doit_stepILb0ENS0_6detail15normal_iteratorINS0_10device_ptrIKiEEEESB_PiSC_lNS7_INS8_IiEEEESC_NS0_4lessIiEENS4_21serial_set_differenceEEE10hipError_tPvRmT0_T1_T2_T3_T4_SP_T5_T6_PSP_T7_T8_P12ihipStream_tbEUllE_jLj1EEEvSL_SM_SM_.has_dyn_sized_stack, 0
	.set _ZN6thrust23THRUST_200600_302600_NS11hip_rocprim14__parallel_for6kernelILj256EZNS1_16__set_operations9doit_stepILb0ENS0_6detail15normal_iteratorINS0_10device_ptrIKiEEEESB_PiSC_lNS7_INS8_IiEEEESC_NS0_4lessIiEENS4_21serial_set_differenceEEE10hipError_tPvRmT0_T1_T2_T3_T4_SP_T5_T6_PSP_T7_T8_P12ihipStream_tbEUllE_jLj1EEEvSL_SM_SM_.has_recursion, 0
	.set _ZN6thrust23THRUST_200600_302600_NS11hip_rocprim14__parallel_for6kernelILj256EZNS1_16__set_operations9doit_stepILb0ENS0_6detail15normal_iteratorINS0_10device_ptrIKiEEEESB_PiSC_lNS7_INS8_IiEEEESC_NS0_4lessIiEENS4_21serial_set_differenceEEE10hipError_tPvRmT0_T1_T2_T3_T4_SP_T5_T6_PSP_T7_T8_P12ihipStream_tbEUllE_jLj1EEEvSL_SM_SM_.has_indirect_call, 0
	.section	.AMDGPU.csdata,"",@progbits
; Kernel info:
; codeLenInByte = 3992
; TotalNumSgprs: 18
; NumVgprs: 25
; ScratchSize: 0
; MemoryBound: 0
; FloatMode: 240
; IeeeMode: 1
; LDSByteSize: 0 bytes/workgroup (compile time only)
; SGPRBlocks: 0
; VGPRBlocks: 1
; NumSGPRsForWavesPerEU: 18
; NumVGPRsForWavesPerEU: 25
; NamedBarCnt: 0
; Occupancy: 16
; WaveLimiterHint : 0
; COMPUTE_PGM_RSRC2:SCRATCH_EN: 0
; COMPUTE_PGM_RSRC2:USER_SGPR: 2
; COMPUTE_PGM_RSRC2:TRAP_HANDLER: 0
; COMPUTE_PGM_RSRC2:TGID_X_EN: 1
; COMPUTE_PGM_RSRC2:TGID_Y_EN: 0
; COMPUTE_PGM_RSRC2:TGID_Z_EN: 0
; COMPUTE_PGM_RSRC2:TIDIG_COMP_CNT: 0
	.section	.text._ZN6thrust23THRUST_200600_302600_NS11hip_rocprim16__set_operations22lookback_set_op_kernelIN7rocprim17ROCPRIM_400000_NS13kernel_configILj256ELj16ELj4294967295EEELb0ENS0_6detail15normal_iteratorINS0_10device_ptrIKiEEEESD_PiSE_lNS9_INSA_IiEEEESE_NS0_4lessIiEENS2_21serial_set_differenceENS5_6detail19lookback_scan_stateIlLb0ELb1EEEEEvT1_T2_T3_T4_T6_T7_T8_T9_PNS0_4pairIT5_SW_EEPSW_T10_NSK_16ordered_block_idIjEE,"axG",@progbits,_ZN6thrust23THRUST_200600_302600_NS11hip_rocprim16__set_operations22lookback_set_op_kernelIN7rocprim17ROCPRIM_400000_NS13kernel_configILj256ELj16ELj4294967295EEELb0ENS0_6detail15normal_iteratorINS0_10device_ptrIKiEEEESD_PiSE_lNS9_INSA_IiEEEESE_NS0_4lessIiEENS2_21serial_set_differenceENS5_6detail19lookback_scan_stateIlLb0ELb1EEEEEvT1_T2_T3_T4_T6_T7_T8_T9_PNS0_4pairIT5_SW_EEPSW_T10_NSK_16ordered_block_idIjEE,comdat
	.protected	_ZN6thrust23THRUST_200600_302600_NS11hip_rocprim16__set_operations22lookback_set_op_kernelIN7rocprim17ROCPRIM_400000_NS13kernel_configILj256ELj16ELj4294967295EEELb0ENS0_6detail15normal_iteratorINS0_10device_ptrIKiEEEESD_PiSE_lNS9_INSA_IiEEEESE_NS0_4lessIiEENS2_21serial_set_differenceENS5_6detail19lookback_scan_stateIlLb0ELb1EEEEEvT1_T2_T3_T4_T6_T7_T8_T9_PNS0_4pairIT5_SW_EEPSW_T10_NSK_16ordered_block_idIjEE ; -- Begin function _ZN6thrust23THRUST_200600_302600_NS11hip_rocprim16__set_operations22lookback_set_op_kernelIN7rocprim17ROCPRIM_400000_NS13kernel_configILj256ELj16ELj4294967295EEELb0ENS0_6detail15normal_iteratorINS0_10device_ptrIKiEEEESD_PiSE_lNS9_INSA_IiEEEESE_NS0_4lessIiEENS2_21serial_set_differenceENS5_6detail19lookback_scan_stateIlLb0ELb1EEEEEvT1_T2_T3_T4_T6_T7_T8_T9_PNS0_4pairIT5_SW_EEPSW_T10_NSK_16ordered_block_idIjEE
	.globl	_ZN6thrust23THRUST_200600_302600_NS11hip_rocprim16__set_operations22lookback_set_op_kernelIN7rocprim17ROCPRIM_400000_NS13kernel_configILj256ELj16ELj4294967295EEELb0ENS0_6detail15normal_iteratorINS0_10device_ptrIKiEEEESD_PiSE_lNS9_INSA_IiEEEESE_NS0_4lessIiEENS2_21serial_set_differenceENS5_6detail19lookback_scan_stateIlLb0ELb1EEEEEvT1_T2_T3_T4_T6_T7_T8_T9_PNS0_4pairIT5_SW_EEPSW_T10_NSK_16ordered_block_idIjEE
	.p2align	8
	.type	_ZN6thrust23THRUST_200600_302600_NS11hip_rocprim16__set_operations22lookback_set_op_kernelIN7rocprim17ROCPRIM_400000_NS13kernel_configILj256ELj16ELj4294967295EEELb0ENS0_6detail15normal_iteratorINS0_10device_ptrIKiEEEESD_PiSE_lNS9_INSA_IiEEEESE_NS0_4lessIiEENS2_21serial_set_differenceENS5_6detail19lookback_scan_stateIlLb0ELb1EEEEEvT1_T2_T3_T4_T6_T7_T8_T9_PNS0_4pairIT5_SW_EEPSW_T10_NSK_16ordered_block_idIjEE,@function
_ZN6thrust23THRUST_200600_302600_NS11hip_rocprim16__set_operations22lookback_set_op_kernelIN7rocprim17ROCPRIM_400000_NS13kernel_configILj256ELj16ELj4294967295EEELb0ENS0_6detail15normal_iteratorINS0_10device_ptrIKiEEEESD_PiSE_lNS9_INSA_IiEEEESE_NS0_4lessIiEENS2_21serial_set_differenceENS5_6detail19lookback_scan_stateIlLb0ELb1EEEEEvT1_T2_T3_T4_T6_T7_T8_T9_PNS0_4pairIT5_SW_EEPSW_T10_NSK_16ordered_block_idIjEE: ; @_ZN6thrust23THRUST_200600_302600_NS11hip_rocprim16__set_operations22lookback_set_op_kernelIN7rocprim17ROCPRIM_400000_NS13kernel_configILj256ELj16ELj4294967295EEELb0ENS0_6detail15normal_iteratorINS0_10device_ptrIKiEEEESD_PiSE_lNS9_INSA_IiEEEESE_NS0_4lessIiEENS2_21serial_set_differenceENS5_6detail19lookback_scan_stateIlLb0ELb1EEEEEvT1_T2_T3_T4_T6_T7_T8_T9_PNS0_4pairIT5_SW_EEPSW_T10_NSK_16ordered_block_idIjEE
; %bb.0:
	s_clause 0x1
	s_load_b32 s3, s[0:1], 0x64
	s_load_b32 s2, s[0:1], 0x58
	v_bfe_u32 v1, v0, 10, 10
	v_bfe_u32 v2, v0, 20, 10
	s_load_b256 s[12:19], s[0:1], 0x38
	v_and_b32_e32 v16, 0x3ff, v0
	s_delay_alu instid0(VALU_DEP_1) | instskip(SKIP_4) | instid1(VALU_DEP_1)
	v_sub_nc_u32_e32 v0, 0, v16
	s_wait_kmcnt 0x0
	s_lshr_b32 s4, s3, 16
	s_and_b32 s3, s3, 0xffff
	v_mad_u32_u24 v1, v2, s4, v1
	v_mul_lo_u32 v1, v1, s3
	s_mov_b32 s3, exec_lo
	s_delay_alu instid0(VALU_DEP_1)
	v_cmpx_eq_u32_e64 v1, v0
	s_cbranch_execz .LBB25_4
; %bb.1:
	s_mov_b32 s5, exec_lo
	s_mov_b32 s4, exec_lo
	v_mbcnt_lo_u32_b32 v0, s5, 0
                                        ; implicit-def: $vgpr1
	s_delay_alu instid0(VALU_DEP_1)
	v_cmpx_eq_u32_e32 0, v0
	s_cbranch_execz .LBB25_3
; %bb.2:
	s_bcnt1_i32_b32 s5, s5
	s_delay_alu instid0(SALU_CYCLE_1)
	v_dual_mov_b32 v1, 0 :: v_dual_mov_b32 v2, s5
	global_atomic_add_u32 v1, v1, v2, s[18:19] th:TH_ATOMIC_RETURN scope:SCOPE_DEV
.LBB25_3:
	s_wait_xcnt 0x0
	s_or_b32 exec_lo, exec_lo, s4
	s_wait_loadcnt 0x0
	v_readfirstlane_b32 s4, v1
	s_delay_alu instid0(VALU_DEP_1)
	v_dual_mov_b32 v1, 0 :: v_dual_add_nc_u32 v0, s4, v0
	ds_store_b32 v1, v0 offset:36864
.LBB25_4:
	s_or_b32 exec_lo, exec_lo, s3
	v_mov_b32_e32 v0, 0
	s_wait_dscnt 0x0
	s_barrier_signal -1
	s_barrier_wait -1
	ds_load_b32 v1, v0 offset:36864
	s_clause 0x1
	s_load_b128 s[4:7], s[0:1], 0x0
	s_load_b64 s[18:19], s[0:1], 0x20
	s_add_co_i32 s2, s2, -1
	s_wait_xcnt 0x0
	s_mov_b32 s0, -1
	s_wait_dscnt 0x0
	s_clause 0x1
	global_load_b128 v[2:5], v1, s[12:13] scale_offset
	global_load_b128 v[6:9], v1, s[12:13] offset:16 scale_offset
	v_cmp_le_i32_e32 vcc_lo, s2, v1
	v_readfirstlane_b32 s20, v1
	s_and_b32 vcc_lo, exec_lo, vcc_lo
	s_wait_loadcnt 0x1
	v_readfirstlane_b32 s3, v2
	v_lshlrev_b64_e32 v[10:11], 2, v[4:5]
	s_wait_loadcnt 0x0
	v_readfirstlane_b32 s1, v6
	s_delay_alu instid0(VALU_DEP_3) | instskip(SKIP_3) | instid1(VALU_DEP_2)
	v_dual_sub_nc_u32 v26, v8, v4 :: v_dual_mov_b32 v2, s3
	s_sub_co_i32 s21, s1, s3
	s_wait_kmcnt 0x0
	v_add_nc_u64_e32 v[18:19], s[6:7], v[10:11]
	v_lshlrev_b64_e32 v[2:3], 2, v[2:3]
	s_delay_alu instid0(VALU_DEP_1)
	v_add_nc_u64_e32 v[20:21], s[4:5], v[2:3]
	s_cbranch_vccz .LBB25_255
; %bb.5:
	v_dual_mov_b32 v1, v0 :: v_dual_add_nc_u32 v22, s21, v26
	v_dual_mov_b32 v2, v0 :: v_dual_mov_b32 v3, v0
	v_dual_mov_b32 v4, v0 :: v_dual_mov_b32 v5, v0
	;; [unrolled: 1-line block ×7, first 2 shown]
	s_mov_b32 s0, exec_lo
	v_cmpx_lt_i32_e64 v16, v22
	s_cbranch_execz .LBB25_7
; %bb.6:
	v_dual_mov_b32 v1, 0 :: v_dual_lshlrev_b32 v0, 2, v16
	v_cmp_gt_i32_e32 vcc_lo, s21, v16
	s_delay_alu instid0(VALU_DEP_2) | instskip(SKIP_3) | instid1(VALU_DEP_3)
	v_add_nc_u64_e32 v[2:3], v[20:21], v[0:1]
	v_subrev_nc_u32_e32 v0, s21, v16
	v_dual_mov_b32 v6, v1 :: v_dual_mov_b32 v7, v1
	v_dual_mov_b32 v8, v1 :: v_dual_mov_b32 v9, v1
	v_lshl_add_u64 v[4:5], v[0:1], 2, v[18:19]
	v_dual_mov_b32 v10, v1 :: v_dual_mov_b32 v11, v1
	v_dual_mov_b32 v12, v1 :: v_dual_mov_b32 v13, v1
	s_delay_alu instid0(VALU_DEP_3)
	v_dual_cndmask_b32 v3, v5, v3 :: v_dual_cndmask_b32 v2, v4, v2
	v_dual_mov_b32 v4, v1 :: v_dual_mov_b32 v5, v1
	v_dual_mov_b32 v14, v1 :: v_dual_mov_b32 v15, v1
	global_load_b32 v0, v[2:3], off
	s_wait_xcnt 0x0
	v_dual_mov_b32 v2, v1 :: v_dual_mov_b32 v3, v1
.LBB25_7:
	s_or_b32 exec_lo, exec_lo, s0
	v_add_nc_u32_e32 v17, 0x100, v16
	s_mov_b32 s0, exec_lo
	s_delay_alu instid0(VALU_DEP_1)
	v_cmpx_lt_i32_e64 v17, v22
	s_cbranch_execz .LBB25_9
; %bb.8:
	v_dual_mov_b32 v25, 0 :: v_dual_lshlrev_b32 v24, 2, v16
	v_cmp_gt_i32_e32 vcc_lo, s21, v17
	s_delay_alu instid0(VALU_DEP_2) | instskip(SKIP_1) | instid1(VALU_DEP_1)
	v_add_nc_u64_e32 v[28:29], v[20:21], v[24:25]
	v_subrev_nc_u32_e32 v24, s21, v17
	v_lshl_add_u64 v[24:25], v[24:25], 2, v[18:19]
	s_delay_alu instid0(VALU_DEP_3) | instskip(NEXT) | instid1(VALU_DEP_1)
	v_add_nc_u64_e32 v[28:29], 0x400, v[28:29]
	v_dual_cndmask_b32 v25, v25, v29 :: v_dual_cndmask_b32 v24, v24, v28
	global_load_b32 v1, v[24:25], off
.LBB25_9:
	s_wait_xcnt 0x0
	s_or_b32 exec_lo, exec_lo, s0
	v_add_nc_u32_e32 v23, 0x200, v16
	s_mov_b32 s0, exec_lo
	s_delay_alu instid0(VALU_DEP_1)
	v_cmpx_lt_i32_e64 v23, v22
	s_cbranch_execz .LBB25_11
; %bb.10:
	v_dual_mov_b32 v25, 0 :: v_dual_lshlrev_b32 v24, 2, v16
	v_cmp_gt_i32_e32 vcc_lo, s21, v23
	s_delay_alu instid0(VALU_DEP_2) | instskip(SKIP_1) | instid1(VALU_DEP_1)
	v_add_nc_u64_e32 v[28:29], v[20:21], v[24:25]
	v_subrev_nc_u32_e32 v24, s21, v23
	v_lshl_add_u64 v[24:25], v[24:25], 2, v[18:19]
	s_delay_alu instid0(VALU_DEP_3) | instskip(NEXT) | instid1(VALU_DEP_1)
	v_add_nc_u64_e32 v[28:29], 0x800, v[28:29]
	v_dual_cndmask_b32 v25, v25, v29 :: v_dual_cndmask_b32 v24, v24, v28
	global_load_b32 v2, v[24:25], off
.LBB25_11:
	s_wait_xcnt 0x0
	;; [unrolled: 19-line block ×3, first 2 shown]
	s_or_b32 exec_lo, exec_lo, s0
	v_or_b32_e32 v23, 0x400, v16
	s_mov_b32 s0, exec_lo
	s_delay_alu instid0(VALU_DEP_1)
	v_cmpx_lt_i32_e64 v23, v22
	s_cbranch_execz .LBB25_15
; %bb.14:
	v_dual_mov_b32 v25, 0 :: v_dual_lshlrev_b32 v24, 2, v16
	v_cmp_gt_i32_e32 vcc_lo, s21, v23
	s_delay_alu instid0(VALU_DEP_2) | instskip(SKIP_1) | instid1(VALU_DEP_1)
	v_add_nc_u64_e32 v[28:29], v[20:21], v[24:25]
	v_subrev_nc_u32_e32 v24, s21, v23
	v_lshl_add_u64 v[24:25], v[24:25], 2, v[18:19]
	s_delay_alu instid0(VALU_DEP_3) | instskip(NEXT) | instid1(VALU_DEP_1)
	v_add_nc_u64_e32 v[28:29], 0x1000, v[28:29]
	v_dual_cndmask_b32 v25, v25, v29 :: v_dual_cndmask_b32 v24, v24, v28
	global_load_b32 v4, v[24:25], off
.LBB25_15:
	s_wait_xcnt 0x0
	s_or_b32 exec_lo, exec_lo, s0
	v_add_nc_u32_e32 v23, 0x500, v16
	s_mov_b32 s0, exec_lo
	s_delay_alu instid0(VALU_DEP_1)
	v_cmpx_lt_i32_e64 v23, v22
	s_cbranch_execz .LBB25_17
; %bb.16:
	v_dual_mov_b32 v25, 0 :: v_dual_lshlrev_b32 v24, 2, v16
	v_cmp_gt_i32_e32 vcc_lo, s21, v23
	s_delay_alu instid0(VALU_DEP_2) | instskip(SKIP_1) | instid1(VALU_DEP_1)
	v_add_nc_u64_e32 v[28:29], v[20:21], v[24:25]
	v_subrev_nc_u32_e32 v24, s21, v23
	v_lshl_add_u64 v[24:25], v[24:25], 2, v[18:19]
	s_delay_alu instid0(VALU_DEP_3) | instskip(NEXT) | instid1(VALU_DEP_1)
	v_add_nc_u64_e32 v[28:29], 0x1400, v[28:29]
	v_dual_cndmask_b32 v25, v25, v29 :: v_dual_cndmask_b32 v24, v24, v28
	global_load_b32 v5, v[24:25], off
.LBB25_17:
	s_wait_xcnt 0x0
	s_or_b32 exec_lo, exec_lo, s0
	v_add_nc_u32_e32 v23, 0x600, v16
	;; [unrolled: 19-line block ×3, first 2 shown]
	s_mov_b32 s0, exec_lo
	s_delay_alu instid0(VALU_DEP_1)
	v_cmpx_lt_i32_e64 v23, v22
	s_cbranch_execz .LBB25_21
; %bb.20:
	v_dual_mov_b32 v25, 0 :: v_dual_lshlrev_b32 v24, 2, v16
	v_cmp_gt_i32_e32 vcc_lo, s21, v23
	s_delay_alu instid0(VALU_DEP_2) | instskip(SKIP_1) | instid1(VALU_DEP_1)
	v_add_nc_u64_e32 v[28:29], v[20:21], v[24:25]
	v_subrev_nc_u32_e32 v24, s21, v23
	v_lshl_add_u64 v[24:25], v[24:25], 2, v[18:19]
	s_delay_alu instid0(VALU_DEP_3) | instskip(NEXT) | instid1(VALU_DEP_1)
	v_add_nc_u64_e32 v[28:29], 0x1c00, v[28:29]
	v_dual_cndmask_b32 v25, v25, v29 :: v_dual_cndmask_b32 v24, v24, v28
	global_load_b32 v7, v[24:25], off
.LBB25_21:
	s_wait_xcnt 0x0
	s_or_b32 exec_lo, exec_lo, s0
	v_or_b32_e32 v23, 0x800, v16
	s_mov_b32 s0, exec_lo
	s_delay_alu instid0(VALU_DEP_1)
	v_cmpx_lt_i32_e64 v23, v22
	s_cbranch_execz .LBB25_23
; %bb.22:
	v_dual_mov_b32 v25, 0 :: v_dual_lshlrev_b32 v24, 2, v16
	v_cmp_gt_i32_e32 vcc_lo, s21, v23
	s_delay_alu instid0(VALU_DEP_2) | instskip(SKIP_1) | instid1(VALU_DEP_1)
	v_add_nc_u64_e32 v[28:29], v[20:21], v[24:25]
	v_subrev_nc_u32_e32 v24, s21, v23
	v_lshl_add_u64 v[24:25], v[24:25], 2, v[18:19]
	s_delay_alu instid0(VALU_DEP_3) | instskip(NEXT) | instid1(VALU_DEP_1)
	v_add_nc_u64_e32 v[28:29], 0x2000, v[28:29]
	v_dual_cndmask_b32 v25, v25, v29 :: v_dual_cndmask_b32 v24, v24, v28
	global_load_b32 v8, v[24:25], off
.LBB25_23:
	s_wait_xcnt 0x0
	s_or_b32 exec_lo, exec_lo, s0
	v_add_nc_u32_e32 v23, 0x900, v16
	s_mov_b32 s0, exec_lo
	s_delay_alu instid0(VALU_DEP_1)
	v_cmpx_lt_i32_e64 v23, v22
	s_cbranch_execz .LBB25_25
; %bb.24:
	v_dual_mov_b32 v25, 0 :: v_dual_lshlrev_b32 v24, 2, v16
	v_cmp_gt_i32_e32 vcc_lo, s21, v23
	s_delay_alu instid0(VALU_DEP_2) | instskip(SKIP_1) | instid1(VALU_DEP_1)
	v_add_nc_u64_e32 v[28:29], v[20:21], v[24:25]
	v_subrev_nc_u32_e32 v24, s21, v23
	v_lshl_add_u64 v[24:25], v[24:25], 2, v[18:19]
	s_delay_alu instid0(VALU_DEP_3) | instskip(NEXT) | instid1(VALU_DEP_1)
	v_add_nc_u64_e32 v[28:29], 0x2400, v[28:29]
	v_dual_cndmask_b32 v25, v25, v29 :: v_dual_cndmask_b32 v24, v24, v28
	global_load_b32 v9, v[24:25], off
.LBB25_25:
	s_wait_xcnt 0x0
	s_or_b32 exec_lo, exec_lo, s0
	v_add_nc_u32_e32 v23, 0xa00, v16
	;; [unrolled: 19-line block ×3, first 2 shown]
	s_mov_b32 s0, exec_lo
	s_delay_alu instid0(VALU_DEP_1)
	v_cmpx_lt_i32_e64 v23, v22
	s_cbranch_execz .LBB25_29
; %bb.28:
	v_dual_mov_b32 v25, 0 :: v_dual_lshlrev_b32 v24, 2, v16
	v_cmp_gt_i32_e32 vcc_lo, s21, v23
	s_delay_alu instid0(VALU_DEP_2) | instskip(SKIP_1) | instid1(VALU_DEP_1)
	v_add_nc_u64_e32 v[28:29], v[20:21], v[24:25]
	v_subrev_nc_u32_e32 v24, s21, v23
	v_lshl_add_u64 v[24:25], v[24:25], 2, v[18:19]
	s_delay_alu instid0(VALU_DEP_3) | instskip(NEXT) | instid1(VALU_DEP_1)
	v_add_nc_u64_e32 v[28:29], 0x2c00, v[28:29]
	v_dual_cndmask_b32 v25, v25, v29 :: v_dual_cndmask_b32 v24, v24, v28
	global_load_b32 v11, v[24:25], off
.LBB25_29:
	s_wait_xcnt 0x0
	s_or_b32 exec_lo, exec_lo, s0
	v_or_b32_e32 v23, 0xc00, v16
	s_mov_b32 s0, exec_lo
	s_delay_alu instid0(VALU_DEP_1)
	v_cmpx_lt_i32_e64 v23, v22
	s_cbranch_execz .LBB25_31
; %bb.30:
	v_dual_mov_b32 v25, 0 :: v_dual_lshlrev_b32 v24, 2, v16
	v_cmp_gt_i32_e32 vcc_lo, s21, v23
	s_delay_alu instid0(VALU_DEP_2) | instskip(SKIP_1) | instid1(VALU_DEP_1)
	v_add_nc_u64_e32 v[28:29], v[20:21], v[24:25]
	v_subrev_nc_u32_e32 v24, s21, v23
	v_lshl_add_u64 v[24:25], v[24:25], 2, v[18:19]
	s_delay_alu instid0(VALU_DEP_3) | instskip(NEXT) | instid1(VALU_DEP_1)
	v_add_nc_u64_e32 v[28:29], 0x3000, v[28:29]
	v_dual_cndmask_b32 v25, v25, v29 :: v_dual_cndmask_b32 v24, v24, v28
	global_load_b32 v12, v[24:25], off
.LBB25_31:
	s_wait_xcnt 0x0
	s_or_b32 exec_lo, exec_lo, s0
	v_add_nc_u32_e32 v23, 0xd00, v16
	s_mov_b32 s0, exec_lo
	s_delay_alu instid0(VALU_DEP_1)
	v_cmpx_lt_i32_e64 v23, v22
	s_cbranch_execz .LBB25_33
; %bb.32:
	v_dual_mov_b32 v25, 0 :: v_dual_lshlrev_b32 v24, 2, v16
	v_cmp_gt_i32_e32 vcc_lo, s21, v23
	s_delay_alu instid0(VALU_DEP_2) | instskip(SKIP_1) | instid1(VALU_DEP_1)
	v_add_nc_u64_e32 v[28:29], v[20:21], v[24:25]
	v_subrev_nc_u32_e32 v24, s21, v23
	v_lshl_add_u64 v[24:25], v[24:25], 2, v[18:19]
	s_delay_alu instid0(VALU_DEP_3) | instskip(NEXT) | instid1(VALU_DEP_1)
	v_add_nc_u64_e32 v[28:29], 0x3400, v[28:29]
	v_dual_cndmask_b32 v25, v25, v29 :: v_dual_cndmask_b32 v24, v24, v28
	global_load_b32 v13, v[24:25], off
.LBB25_33:
	s_wait_xcnt 0x0
	s_or_b32 exec_lo, exec_lo, s0
	v_add_nc_u32_e32 v23, 0xe00, v16
	;; [unrolled: 19-line block ×3, first 2 shown]
	s_mov_b32 s0, exec_lo
	s_delay_alu instid0(VALU_DEP_1)
	v_cmpx_lt_i32_e64 v23, v22
	s_cbranch_execz .LBB25_37
; %bb.36:
	v_dual_mov_b32 v25, 0 :: v_dual_lshlrev_b32 v24, 2, v16
	v_cmp_gt_i32_e32 vcc_lo, s21, v23
	s_delay_alu instid0(VALU_DEP_2) | instskip(SKIP_1) | instid1(VALU_DEP_1)
	v_add_nc_u64_e32 v[28:29], v[20:21], v[24:25]
	v_subrev_nc_u32_e32 v24, s21, v23
	v_lshl_add_u64 v[24:25], v[24:25], 2, v[18:19]
	s_delay_alu instid0(VALU_DEP_3) | instskip(NEXT) | instid1(VALU_DEP_1)
	v_add_nc_u64_e32 v[28:29], 0x3c00, v[28:29]
	v_dual_cndmask_b32 v25, v25, v29 :: v_dual_cndmask_b32 v24, v24, v28
	global_load_b32 v15, v[24:25], off
.LBB25_37:
	s_wait_xcnt 0x0
	s_or_b32 exec_lo, exec_lo, s0
	v_lshlrev_b32_e32 v23, 2, v16
	s_lshl_b32 s0, s21, 2
	s_mov_b32 s2, 0
	s_addk_co_i32 s0, 0x4800
	s_mov_b32 s1, exec_lo
	s_wait_loadcnt 0x0
	ds_store_2addr_stride64_b32 v23, v2, v3 offset0:84 offset1:88
	ds_store_2addr_stride64_b32 v23, v4, v5 offset0:92 offset1:96
	;; [unrolled: 1-line block ×6, first 2 shown]
	v_lshlrev_b32_e32 v2, 4, v16
	ds_store_2addr_stride64_b32 v23, v0, v1 offset0:76 offset1:80
	ds_store_2addr_stride64_b32 v23, v14, v15 offset0:132 offset1:136
	s_wait_dscnt 0x0
	s_barrier_signal -1
	v_min_i32_e32 v2, v22, v2
	s_barrier_wait -1
	s_delay_alu instid0(VALU_DEP_1) | instskip(SKIP_1) | instid1(VALU_DEP_2)
	v_sub_nc_u32_e32 v3, v2, v26
	v_min_i32_e32 v1, s21, v2
	v_max_i32_e32 v0, 0, v3
	s_delay_alu instid0(VALU_DEP_1)
	v_cmpx_lt_i32_e64 v0, v1
	s_cbranch_execz .LBB25_41
; %bb.38:
	v_lshlrev_b32_e32 v3, 2, v2
	s_delay_alu instid0(VALU_DEP_1)
	v_add3_u32 v3, s0, v3, 0x400
.LBB25_39:                              ; =>This Inner Loop Header: Depth=1
	v_add_nc_u32_e32 v4, v1, v0
	s_delay_alu instid0(VALU_DEP_1) | instskip(NEXT) | instid1(VALU_DEP_1)
	v_lshrrev_b32_e32 v4, 1, v4
	v_not_b32_e32 v5, v4
	v_dual_lshlrev_b32 v6, 2, v4 :: v_dual_add_nc_u32 v7, 1, v4
	s_delay_alu instid0(VALU_DEP_2)
	v_lshl_add_u32 v5, v5, 2, v3
	ds_load_b32 v6, v6 offset:19456
	ds_load_b32 v5, v5
	s_wait_dscnt 0x0
	v_cmp_lt_i32_e32 vcc_lo, v5, v6
	v_cndmask_b32_e32 v1, v1, v4, vcc_lo
	v_cndmask_b32_e32 v0, v7, v0, vcc_lo
	s_delay_alu instid0(VALU_DEP_1) | instskip(SKIP_1) | instid1(SALU_CYCLE_1)
	v_cmp_ge_i32_e32 vcc_lo, v0, v1
	s_or_b32 s2, vcc_lo, s2
	s_and_not1_b32 exec_lo, exec_lo, s2
	s_cbranch_execnz .LBB25_39
; %bb.40:
	s_or_b32 exec_lo, exec_lo, s2
.LBB25_41:
	s_delay_alu instid0(SALU_CYCLE_1) | instskip(SKIP_3) | instid1(VALU_DEP_1)
	s_or_b32 exec_lo, exec_lo, s1
	v_dual_mov_b32 v4, 0 :: v_dual_add_nc_u32 v3, 0x4800, v23
	v_sub_nc_u32_e32 v6, v2, v0
	s_mov_b32 s1, exec_lo
	v_cmpx_lt_i32_e64 v6, v26
	s_cbranch_execz .LBB25_71
; %bb.42:
	v_lshl_add_u32 v4, v6, 2, s0
	v_dual_mov_b32 v1, 0 :: v_dual_mov_b32 v7, 0
	s_mov_b32 s2, exec_lo
	ds_load_b32 v5, v4 offset:1024
	v_cmpx_lt_i32_e32 0, v0
	s_cbranch_execnz .LBB25_47
; %bb.43:
	s_or_b32 exec_lo, exec_lo, s2
	s_delay_alu instid0(SALU_CYCLE_1)
	s_mov_b32 s2, exec_lo
	v_cmpx_lt_i32_e64 v1, v7
	s_cbranch_execnz .LBB25_48
.LBB25_44:
	s_or_b32 exec_lo, exec_lo, s2
	s_delay_alu instid0(SALU_CYCLE_1)
	s_mov_b32 s2, exec_lo
	v_cmpx_lt_i32_e64 v1, v7
	s_cbranch_execnz .LBB25_49
.LBB25_45:
	s_or_b32 exec_lo, exec_lo, s2
	s_delay_alu instid0(SALU_CYCLE_1)
	s_mov_b32 s2, exec_lo
	v_cmpx_lt_i32_e64 v1, v7
	s_cbranch_execnz .LBB25_50
.LBB25_46:
	s_or_b32 exec_lo, exec_lo, s2
	s_delay_alu instid0(SALU_CYCLE_1)
	s_mov_b32 s2, exec_lo
	v_cmpx_lt_i32_e64 v1, v7
	s_cbranch_execnz .LBB25_51
	s_branch .LBB25_54
.LBB25_47:
	v_mul_lo_u32 v1, 0x1ff, v0
	s_delay_alu instid0(VALU_DEP_1) | instskip(NEXT) | instid1(VALU_DEP_1)
	v_ashrrev_i32_e32 v7, 9, v1
	v_dual_lshlrev_b32 v1, 2, v7 :: v_dual_add_nc_u32 v8, 1, v7
	ds_load_b32 v1, v1 offset:19456
	s_wait_dscnt 0x0
	v_cmp_lt_i32_e32 vcc_lo, v1, v5
	v_cndmask_b32_e32 v1, 0, v8, vcc_lo
	v_cndmask_b32_e32 v7, v7, v0, vcc_lo
	s_or_b32 exec_lo, exec_lo, s2
	s_delay_alu instid0(SALU_CYCLE_1) | instskip(NEXT) | instid1(VALU_DEP_1)
	s_mov_b32 s2, exec_lo
	v_cmpx_lt_i32_e64 v1, v7
	s_cbranch_execz .LBB25_44
.LBB25_48:
	v_sub_nc_u32_e32 v8, v1, v7
	s_delay_alu instid0(VALU_DEP_1) | instskip(NEXT) | instid1(VALU_DEP_1)
	v_lshl_add_u32 v8, v7, 7, v8
	v_ashrrev_i32_e32 v8, 7, v8
	s_delay_alu instid0(VALU_DEP_1)
	v_dual_lshlrev_b32 v9, 2, v8 :: v_dual_add_nc_u32 v10, 1, v8
	ds_load_b32 v9, v9 offset:19456
	s_wait_dscnt 0x0
	v_cmp_lt_i32_e32 vcc_lo, v9, v5
	v_dual_cndmask_b32 v1, v1, v10, vcc_lo :: v_dual_cndmask_b32 v7, v8, v7, vcc_lo
	s_or_b32 exec_lo, exec_lo, s2
	s_delay_alu instid0(SALU_CYCLE_1) | instskip(NEXT) | instid1(VALU_DEP_1)
	s_mov_b32 s2, exec_lo
	v_cmpx_lt_i32_e64 v1, v7
	s_cbranch_execz .LBB25_45
.LBB25_49:
	v_sub_nc_u32_e32 v8, v1, v7
	s_delay_alu instid0(VALU_DEP_1) | instskip(NEXT) | instid1(VALU_DEP_1)
	v_lshl_add_u32 v8, v7, 5, v8
	v_ashrrev_i32_e32 v8, 5, v8
	s_delay_alu instid0(VALU_DEP_1)
	v_dual_lshlrev_b32 v9, 2, v8 :: v_dual_add_nc_u32 v10, 1, v8
	ds_load_b32 v9, v9 offset:19456
	s_wait_dscnt 0x0
	v_cmp_lt_i32_e32 vcc_lo, v9, v5
	v_dual_cndmask_b32 v1, v1, v10, vcc_lo :: v_dual_cndmask_b32 v7, v8, v7, vcc_lo
	s_or_b32 exec_lo, exec_lo, s2
	s_delay_alu instid0(SALU_CYCLE_1) | instskip(NEXT) | instid1(VALU_DEP_1)
	s_mov_b32 s2, exec_lo
	v_cmpx_lt_i32_e64 v1, v7
	s_cbranch_execz .LBB25_46
.LBB25_50:
	v_sub_nc_u32_e32 v8, v1, v7
	s_delay_alu instid0(VALU_DEP_1) | instskip(NEXT) | instid1(VALU_DEP_1)
	v_lshl_add_u32 v8, v7, 4, v8
	v_ashrrev_i32_e32 v8, 4, v8
	s_delay_alu instid0(VALU_DEP_1)
	v_dual_lshlrev_b32 v9, 2, v8 :: v_dual_add_nc_u32 v10, 1, v8
	ds_load_b32 v9, v9 offset:19456
	s_wait_dscnt 0x0
	v_cmp_lt_i32_e32 vcc_lo, v9, v5
	v_dual_cndmask_b32 v1, v1, v10, vcc_lo :: v_dual_cndmask_b32 v7, v8, v7, vcc_lo
	s_or_b32 exec_lo, exec_lo, s2
	s_delay_alu instid0(SALU_CYCLE_1) | instskip(NEXT) | instid1(VALU_DEP_1)
	s_mov_b32 s2, exec_lo
	v_cmpx_lt_i32_e64 v1, v7
	s_cbranch_execz .LBB25_54
.LBB25_51:
	s_mov_b32 s3, 0
.LBB25_52:                              ; =>This Inner Loop Header: Depth=1
	v_sub_nc_u32_e32 v8, v1, v7
	s_delay_alu instid0(VALU_DEP_1) | instskip(NEXT) | instid1(VALU_DEP_1)
	v_lshl_add_u32 v8, v7, 1, v8
	v_ashrrev_i32_e32 v8, 1, v8
	s_delay_alu instid0(VALU_DEP_1) | instskip(SKIP_4) | instid1(VALU_DEP_1)
	v_dual_lshlrev_b32 v9, 2, v8 :: v_dual_add_nc_u32 v10, 1, v8
	ds_load_b32 v9, v9 offset:19456
	s_wait_dscnt 0x0
	v_cmp_lt_i32_e32 vcc_lo, v9, v5
	v_dual_cndmask_b32 v1, v1, v10, vcc_lo :: v_dual_cndmask_b32 v7, v8, v7, vcc_lo
	v_cmp_ge_i32_e32 vcc_lo, v1, v7
	s_or_b32 s3, vcc_lo, s3
	s_delay_alu instid0(SALU_CYCLE_1)
	s_and_not1_b32 exec_lo, exec_lo, s3
	s_cbranch_execnz .LBB25_52
; %bb.53:
	s_or_b32 exec_lo, exec_lo, s3
.LBB25_54:
	s_delay_alu instid0(SALU_CYCLE_1)
	s_or_b32 exec_lo, exec_lo, s2
	v_dual_mov_b32 v7, 0 :: v_dual_mov_b32 v8, v6
	s_mov_b32 s2, exec_lo
	v_cmpx_lt_i32_e32 0, v6
	s_cbranch_execnz .LBB25_59
; %bb.55:
	s_or_b32 exec_lo, exec_lo, s2
	s_delay_alu instid0(SALU_CYCLE_1)
	s_mov_b32 s2, exec_lo
	v_cmpx_lt_i32_e64 v7, v8
	s_cbranch_execnz .LBB25_60
.LBB25_56:
	s_or_b32 exec_lo, exec_lo, s2
	s_delay_alu instid0(SALU_CYCLE_1)
	s_mov_b32 s2, exec_lo
	v_cmpx_lt_i32_e64 v7, v8
	s_cbranch_execnz .LBB25_61
.LBB25_57:
	s_or_b32 exec_lo, exec_lo, s2
	s_delay_alu instid0(SALU_CYCLE_1)
	s_mov_b32 s2, exec_lo
	v_cmpx_lt_i32_e64 v7, v8
	s_cbranch_execnz .LBB25_62
.LBB25_58:
	s_or_b32 exec_lo, exec_lo, s2
	s_delay_alu instid0(SALU_CYCLE_1)
	s_mov_b32 s2, exec_lo
	v_cmpx_lt_i32_e64 v7, v8
	s_cbranch_execnz .LBB25_63
	s_branch .LBB25_66
.LBB25_59:
	v_mul_lo_u32 v7, 0x1ff, v6
	s_delay_alu instid0(VALU_DEP_1) | instskip(NEXT) | instid1(VALU_DEP_1)
	v_lshrrev_b32_e32 v8, 9, v7
	v_lshl_add_u32 v7, v8, 2, s0
	ds_load_b32 v7, v7 offset:1024
	s_wait_dscnt 0x0
	v_cmp_lt_i32_e32 vcc_lo, v7, v5
	v_add_nc_u32_e32 v9, 1, v8
	s_delay_alu instid0(VALU_DEP_1) | instskip(SKIP_1) | instid1(SALU_CYCLE_1)
	v_dual_cndmask_b32 v7, 0, v9 :: v_dual_cndmask_b32 v8, v8, v6
	s_or_b32 exec_lo, exec_lo, s2
	s_mov_b32 s2, exec_lo
	s_delay_alu instid0(VALU_DEP_1)
	v_cmpx_lt_i32_e64 v7, v8
	s_cbranch_execz .LBB25_56
.LBB25_60:
	v_sub_nc_u32_e32 v9, v7, v8
	s_delay_alu instid0(VALU_DEP_1) | instskip(NEXT) | instid1(VALU_DEP_1)
	v_lshl_add_u32 v9, v8, 7, v9
	v_ashrrev_i32_e32 v9, 7, v9
	s_delay_alu instid0(VALU_DEP_1) | instskip(SKIP_4) | instid1(VALU_DEP_1)
	v_lshl_add_u32 v10, v9, 2, s0
	ds_load_b32 v10, v10 offset:1024
	s_wait_dscnt 0x0
	v_cmp_lt_i32_e32 vcc_lo, v10, v5
	v_dual_cndmask_b32 v8, v9, v8 :: v_dual_add_nc_u32 v11, 1, v9
	v_cndmask_b32_e32 v7, v7, v11, vcc_lo
	s_or_b32 exec_lo, exec_lo, s2
	s_delay_alu instid0(SALU_CYCLE_1) | instskip(NEXT) | instid1(VALU_DEP_1)
	s_mov_b32 s2, exec_lo
	v_cmpx_lt_i32_e64 v7, v8
	s_cbranch_execz .LBB25_57
.LBB25_61:
	v_sub_nc_u32_e32 v9, v7, v8
	s_delay_alu instid0(VALU_DEP_1) | instskip(NEXT) | instid1(VALU_DEP_1)
	v_lshl_add_u32 v9, v8, 5, v9
	v_ashrrev_i32_e32 v9, 5, v9
	s_delay_alu instid0(VALU_DEP_1) | instskip(SKIP_4) | instid1(VALU_DEP_1)
	v_lshl_add_u32 v10, v9, 2, s0
	ds_load_b32 v10, v10 offset:1024
	s_wait_dscnt 0x0
	v_cmp_lt_i32_e32 vcc_lo, v10, v5
	v_dual_cndmask_b32 v8, v9, v8 :: v_dual_add_nc_u32 v11, 1, v9
	v_cndmask_b32_e32 v7, v7, v11, vcc_lo
	s_or_b32 exec_lo, exec_lo, s2
	s_delay_alu instid0(SALU_CYCLE_1) | instskip(NEXT) | instid1(VALU_DEP_1)
	s_mov_b32 s2, exec_lo
	v_cmpx_lt_i32_e64 v7, v8
	s_cbranch_execz .LBB25_58
.LBB25_62:
	v_sub_nc_u32_e32 v9, v7, v8
	s_delay_alu instid0(VALU_DEP_1) | instskip(NEXT) | instid1(VALU_DEP_1)
	v_lshl_add_u32 v9, v8, 4, v9
	v_ashrrev_i32_e32 v9, 4, v9
	s_delay_alu instid0(VALU_DEP_1) | instskip(SKIP_4) | instid1(VALU_DEP_1)
	v_lshl_add_u32 v10, v9, 2, s0
	ds_load_b32 v10, v10 offset:1024
	s_wait_dscnt 0x0
	v_cmp_lt_i32_e32 vcc_lo, v10, v5
	v_dual_cndmask_b32 v8, v9, v8 :: v_dual_add_nc_u32 v11, 1, v9
	v_cndmask_b32_e32 v7, v7, v11, vcc_lo
	s_or_b32 exec_lo, exec_lo, s2
	s_delay_alu instid0(SALU_CYCLE_1) | instskip(NEXT) | instid1(VALU_DEP_1)
	s_mov_b32 s2, exec_lo
	v_cmpx_lt_i32_e64 v7, v8
	s_cbranch_execz .LBB25_66
.LBB25_63:
	s_mov_b32 s3, 0
.LBB25_64:                              ; =>This Inner Loop Header: Depth=1
	v_sub_nc_u32_e32 v9, v7, v8
	s_delay_alu instid0(VALU_DEP_1) | instskip(NEXT) | instid1(VALU_DEP_1)
	v_lshl_add_u32 v9, v8, 1, v9
	v_ashrrev_i32_e32 v9, 1, v9
	s_delay_alu instid0(VALU_DEP_1) | instskip(SKIP_4) | instid1(VALU_DEP_1)
	v_lshl_add_u32 v10, v9, 2, s0
	ds_load_b32 v10, v10 offset:1024
	s_wait_dscnt 0x0
	v_cmp_lt_i32_e32 vcc_lo, v10, v5
	v_dual_cndmask_b32 v8, v9, v8 :: v_dual_add_nc_u32 v11, 1, v9
	v_cndmask_b32_e32 v7, v7, v11, vcc_lo
	s_delay_alu instid0(VALU_DEP_1) | instskip(SKIP_1) | instid1(SALU_CYCLE_1)
	v_cmp_ge_i32_e32 vcc_lo, v7, v8
	s_or_b32 s3, vcc_lo, s3
	s_and_not1_b32 exec_lo, exec_lo, s3
	s_cbranch_execnz .LBB25_64
; %bb.65:
	s_or_b32 exec_lo, exec_lo, s3
.LBB25_66:
	s_delay_alu instid0(SALU_CYCLE_1) | instskip(SKIP_2) | instid1(VALU_DEP_1)
	s_or_b32 exec_lo, exec_lo, s2
	v_dual_sub_nc_u32 v0, v0, v1 :: v_dual_sub_nc_u32 v9, v6, v7
	s_mov_b32 s0, exec_lo
	v_add_nc_u32_e32 v8, v9, v0
	s_delay_alu instid0(VALU_DEP_1) | instskip(NEXT) | instid1(VALU_DEP_1)
	v_ashrrev_i32_e32 v0, 1, v8
	v_max_i32_e32 v0, v0, v9
	s_delay_alu instid0(VALU_DEP_1) | instskip(NEXT) | instid1(VALU_DEP_1)
	v_add_nc_u32_e32 v7, v7, v0
	v_add_min_i32_e64 v7, v7, 1, v26
	s_delay_alu instid0(VALU_DEP_1) | instskip(NEXT) | instid1(VALU_DEP_1)
	v_dual_mov_b32 v6, 0 :: v_dual_sub_nc_u32 v7, v7, v6
	v_cmpx_lt_i32_e32 0, v7
	s_cbranch_execz .LBB25_70
; %bb.67:
	v_mov_b32_e32 v6, 0
	s_mov_b32 s2, 0
.LBB25_68:                              ; =>This Inner Loop Header: Depth=1
	s_delay_alu instid0(VALU_DEP_1) | instskip(NEXT) | instid1(VALU_DEP_1)
	v_add_nc_u32_e32 v10, v6, v7
	v_lshrrev_b32_e32 v10, 1, v10
	s_delay_alu instid0(VALU_DEP_1) | instskip(SKIP_4) | instid1(VALU_DEP_1)
	v_lshl_add_u32 v11, v10, 2, v4
	ds_load_b32 v11, v11 offset:1024
	s_wait_dscnt 0x0
	v_cmp_lt_i32_e32 vcc_lo, v5, v11
	v_dual_cndmask_b32 v7, v7, v10 :: v_dual_add_nc_u32 v12, 1, v10
	v_cndmask_b32_e32 v6, v12, v6, vcc_lo
	s_delay_alu instid0(VALU_DEP_1) | instskip(SKIP_1) | instid1(SALU_CYCLE_1)
	v_cmp_ge_i32_e32 vcc_lo, v6, v7
	s_or_b32 s2, vcc_lo, s2
	s_and_not1_b32 exec_lo, exec_lo, s2
	s_cbranch_execnz .LBB25_68
; %bb.69:
	s_or_b32 exec_lo, exec_lo, s2
.LBB25_70:
	s_delay_alu instid0(SALU_CYCLE_1) | instskip(NEXT) | instid1(VALU_DEP_2)
	s_or_b32 exec_lo, exec_lo, s0
	v_add_nc_u32_e32 v4, v6, v9
	s_wait_dscnt 0x0
	s_delay_alu instid0(VALU_DEP_1) | instskip(SKIP_1) | instid1(VALU_DEP_2)
	v_min_i32_e32 v5, v4, v0
	v_cmp_lt_i32_e32 vcc_lo, v0, v4
	v_sub_nc_u32_e32 v6, v8, v5
	s_delay_alu instid0(VALU_DEP_1) | instskip(SKIP_1) | instid1(VALU_DEP_1)
	v_add_nc_u32_e32 v0, v6, v1
	v_add_nc_u32_e32 v5, 1, v5
	v_cmp_eq_u32_e64 s0, v6, v5
	s_and_b32 s0, vcc_lo, s0
	s_delay_alu instid0(SALU_CYCLE_1)
	v_cndmask_b32_e64 v4, 0, 1, s0
.LBB25_71:
	s_or_b32 exec_lo, exec_lo, s1
	s_delay_alu instid0(VALU_DEP_1) | instskip(SKIP_1) | instid1(SALU_CYCLE_1)
	v_add_nc_u32_e32 v1, v4, v2
	s_lshl_b32 s0, s21, 16
	v_or_b32_e32 v2, s0, v26
	v_sub_co_u32 v5, s0, v16, 1
	s_delay_alu instid0(VALU_DEP_3) | instskip(NEXT) | instid1(VALU_DEP_2)
	v_sub_nc_u32_e32 v8, v1, v0
	v_cndmask_b32_e64 v5, v5, 0xff, s0
	s_delay_alu instid0(VALU_DEP_2) | instskip(NEXT) | instid1(VALU_DEP_1)
	v_lshl_or_b32 v4, v0, 16, v8
	v_dual_lshlrev_b32 v6, 2, v5 :: v_dual_cndmask_b32 v4, v4, v2, s0
	v_add_nc_u32_e32 v2, s21, v8
	v_lshlrev_b32_e32 v7, 2, v0
	ds_store_b32 v6, v4 offset:18432
	v_lshlrev_b32_e32 v5, 2, v2
	s_wait_dscnt 0x0
	s_barrier_signal -1
	s_barrier_wait -1
	ds_load_b32 v3, v3
	ds_load_b32 v27, v7 offset:19456
	ds_load_b32 v6, v5 offset:19456
	s_wait_dscnt 0x2
	v_and_b32_e32 v4, 0xffff, v3
	s_wait_dscnt 0x1
	v_mov_b32_e32 v28, v27
	s_wait_dscnt 0x0
	v_cmp_lt_i32_e32 vcc_lo, v6, v27
	v_cndmask_b32_e64 v9, 0, 1, vcc_lo
	v_ashrrev_i32_e32 v3, 16, v3
	v_cmp_le_i32_e32 vcc_lo, v4, v8
	s_delay_alu instid0(VALU_DEP_2) | instskip(NEXT) | instid1(VALU_DEP_1)
	v_cmp_le_i32_e64 s2, v3, v0
	v_cndmask_b32_e64 v8, 0, 1, s2
	s_or_b32 s1, s2, vcc_lo
	s_delay_alu instid0(VALU_DEP_1) | instid1(SALU_CYCLE_1)
	v_cndmask_b32_e64 v8, v9, v8, s1
	s_delay_alu instid0(VALU_DEP_1) | instskip(NEXT) | instid1(VALU_DEP_1)
	v_and_b32_e32 v8, 1, v8
	v_cmp_eq_u32_e64 s3, 1, v8
	s_xor_b32 s4, s3, -1
	s_delay_alu instid0(SALU_CYCLE_1)
	s_and_saveexec_b32 s3, s4
; %bb.72:
	v_add_nc_u32_e32 v7, 0x4800, v7
	v_add_nc_u32_e32 v0, 1, v0
	ds_load_b32 v28, v7 offset:1028
; %bb.73:
	s_or_b32 exec_lo, exec_lo, s3
	s_xor_b32 s3, s2, -1
	v_cmp_lt_i32_e64 s2, v27, v6
	s_delay_alu instid0(VALU_DEP_1) | instskip(SKIP_1) | instid1(SALU_CYCLE_1)
	v_cndmask_b32_e64 v7, 0, 1, s2
	s_and_b32 s2, vcc_lo, s3
	v_cndmask_b32_e64 v8, 0, 1, s2
	s_delay_alu instid0(VALU_DEP_1) | instskip(NEXT) | instid1(VALU_DEP_1)
	v_cndmask_b32_e64 v7, v7, v8, s1
	v_and_b32_e32 v7, 1, v7
	s_delay_alu instid0(VALU_DEP_1) | instskip(SKIP_1) | instid1(SALU_CYCLE_1)
	v_cmp_eq_u32_e32 vcc_lo, 1, v7
	s_xor_b32 s2, vcc_lo, -1
	s_and_saveexec_b32 s1, s2
; %bb.74:
	v_add_nc_u32_e32 v5, 0x4800, v5
	v_add_nc_u32_e32 v2, 1, v2
	ds_load_b32 v6, v5 offset:1028
; %bb.75:
	s_or_b32 exec_lo, exec_lo, s1
	s_wait_dscnt 0x0
	v_cmp_lt_i32_e64 s3, v6, v28
	v_cmp_ge_i32_e64 s1, v0, v3
	v_mov_b32_e32 v29, v28
	s_delay_alu instid0(VALU_DEP_3) | instskip(SKIP_1) | instid1(VALU_DEP_4)
	v_cndmask_b32_e64 v5, 0, 1, s3
	v_add_nc_u32_e32 v7, s21, v4
	v_cndmask_b32_e64 v4, 0, 1, s1
	s_delay_alu instid0(VALU_DEP_2) | instskip(SKIP_1) | instid1(SALU_CYCLE_1)
	v_cmp_ge_i32_e64 s2, v2, v7
	s_or_b32 s3, s1, s2
	v_cndmask_b32_e64 v4, v5, v4, s3
	s_delay_alu instid0(VALU_DEP_1) | instskip(NEXT) | instid1(VALU_DEP_1)
	v_and_b32_e32 v4, 1, v4
	v_cmp_eq_u32_e64 s3, 1, v4
	v_mov_b32_e32 v4, v0
	s_xor_b32 s4, s3, -1
	s_delay_alu instid0(SALU_CYCLE_1)
	s_and_saveexec_b32 s3, s4
; %bb.76:
	v_lshlrev_b32_e32 v4, 2, v0
	ds_load_b32 v29, v4 offset:19460
	v_add_nc_u32_e32 v4, 1, v0
; %bb.77:
	s_or_b32 exec_lo, exec_lo, s3
	v_cmp_lt_i32_e64 s3, v28, v6
	s_xor_b32 s1, s1, -1
	v_mov_b32_e32 v5, v2
	s_or_b32 s2, s2, s3
	s_delay_alu instid0(SALU_CYCLE_1) | instskip(NEXT) | instid1(SALU_CYCLE_1)
	s_and_b32 s23, s1, s2
	s_xor_b32 s2, s23, -1
	s_delay_alu instid0(SALU_CYCLE_1)
	s_and_saveexec_b32 s1, s2
; %bb.78:
	v_lshlrev_b32_e32 v5, 2, v2
	ds_load_b32 v6, v5 offset:19460
	v_add_nc_u32_e32 v5, 1, v2
; %bb.79:
	s_or_b32 exec_lo, exec_lo, s1
	v_cmp_ge_i32_e64 s1, v4, v3
	s_wait_dscnt 0x0
	v_cmp_lt_i32_e64 s3, v6, v29
	v_cmp_ge_i32_e64 s2, v5, v7
	v_mov_b32_e32 v30, v29
	v_cndmask_b32_e64 v8, 0, 1, s1
	s_delay_alu instid0(VALU_DEP_4)
	v_cndmask_b32_e64 v9, 0, 1, s3
	s_or_b32 s3, s1, s2
	s_delay_alu instid0(VALU_DEP_1) | instid1(SALU_CYCLE_1)
	v_cndmask_b32_e64 v8, v9, v8, s3
	s_delay_alu instid0(VALU_DEP_1) | instskip(NEXT) | instid1(VALU_DEP_1)
	v_and_b32_e32 v8, 1, v8
	v_cmp_eq_u32_e64 s3, 1, v8
	v_mov_b32_e32 v8, v4
	s_xor_b32 s4, s3, -1
	s_delay_alu instid0(SALU_CYCLE_1)
	s_and_saveexec_b32 s3, s4
; %bb.80:
	v_lshlrev_b32_e32 v8, 2, v4
	ds_load_b32 v30, v8 offset:19460
	v_add_nc_u32_e32 v8, 1, v4
; %bb.81:
	s_or_b32 exec_lo, exec_lo, s3
	v_cmp_lt_i32_e64 s3, v29, v6
	s_xor_b32 s1, s1, -1
	v_mov_b32_e32 v9, v5
	s_or_b32 s2, s2, s3
	s_delay_alu instid0(SALU_CYCLE_1) | instskip(NEXT) | instid1(SALU_CYCLE_1)
	s_and_b32 s22, s1, s2
	s_xor_b32 s2, s22, -1
	s_delay_alu instid0(SALU_CYCLE_1)
	s_and_saveexec_b32 s1, s2
; %bb.82:
	v_dual_lshlrev_b32 v6, 2, v5 :: v_dual_add_nc_u32 v9, 1, v5
	ds_load_b32 v6, v6 offset:19460
; %bb.83:
	s_or_b32 exec_lo, exec_lo, s1
	v_cmp_ge_i32_e64 s1, v8, v3
	s_wait_dscnt 0x0
	v_cmp_lt_i32_e64 s3, v6, v30
	v_cmp_ge_i32_e64 s2, v9, v7
	v_mov_b32_e32 v31, v30
	v_cndmask_b32_e64 v10, 0, 1, s1
	s_delay_alu instid0(VALU_DEP_4)
	v_cndmask_b32_e64 v11, 0, 1, s3
	s_or_b32 s3, s1, s2
	s_delay_alu instid0(VALU_DEP_1) | instid1(SALU_CYCLE_1)
	v_cndmask_b32_e64 v10, v11, v10, s3
	s_delay_alu instid0(VALU_DEP_1) | instskip(NEXT) | instid1(VALU_DEP_1)
	v_and_b32_e32 v10, 1, v10
	v_cmp_eq_u32_e64 s3, 1, v10
	v_mov_b32_e32 v10, v8
	s_xor_b32 s4, s3, -1
	s_delay_alu instid0(SALU_CYCLE_1)
	s_and_saveexec_b32 s3, s4
; %bb.84:
	v_lshlrev_b32_e32 v10, 2, v8
	ds_load_b32 v31, v10 offset:19460
	v_add_nc_u32_e32 v10, 1, v8
; %bb.85:
	s_or_b32 exec_lo, exec_lo, s3
	v_cmp_lt_i32_e64 s3, v30, v6
	s_xor_b32 s1, s1, -1
	v_mov_b32_e32 v11, v9
	s_or_b32 s2, s2, s3
	s_delay_alu instid0(SALU_CYCLE_1) | instskip(NEXT) | instid1(SALU_CYCLE_1)
	s_and_b32 s24, s1, s2
	s_xor_b32 s2, s24, -1
	s_delay_alu instid0(SALU_CYCLE_1)
	s_and_saveexec_b32 s1, s2
; %bb.86:
	v_dual_lshlrev_b32 v6, 2, v9 :: v_dual_add_nc_u32 v11, 1, v9
	ds_load_b32 v6, v6 offset:19460
	;; [unrolled: 38-line block ×6, first 2 shown]
; %bb.103:
	s_or_b32 exec_lo, exec_lo, s1
	v_cmp_ge_i32_e64 s1, v24, v3
	s_wait_dscnt 0x0
	v_cmp_lt_i32_e64 s3, v6, v35
	v_cmp_ge_i32_e64 s2, v25, v7
	v_mov_b32_e32 v43, v24
	v_cndmask_b32_e64 v36, 0, 1, s1
	s_delay_alu instid0(VALU_DEP_4)
	v_cndmask_b32_e64 v37, 0, 1, s3
	s_or_b32 s3, s1, s2
	s_delay_alu instid0(VALU_DEP_1) | instid1(SALU_CYCLE_1)
	v_cndmask_b32_e64 v36, v37, v36, s3
	s_delay_alu instid0(VALU_DEP_1) | instskip(NEXT) | instid1(VALU_DEP_1)
	v_and_b32_e32 v36, 1, v36
	v_cmp_eq_u32_e64 s3, 1, v36
	v_mov_b32_e32 v36, v35
	s_xor_b32 s4, s3, -1
	s_delay_alu instid0(SALU_CYCLE_1)
	s_and_saveexec_b32 s3, s4
; %bb.104:
	v_dual_lshlrev_b32 v36, 2, v24 :: v_dual_add_nc_u32 v43, 1, v24
	ds_load_b32 v36, v36 offset:19460
; %bb.105:
	s_or_b32 exec_lo, exec_lo, s3
	v_cmp_lt_i32_e64 s3, v35, v6
	s_xor_b32 s1, s1, -1
	v_mov_b32_e32 v44, v25
	s_or_b32 s2, s2, s3
	s_delay_alu instid0(SALU_CYCLE_1) | instskip(NEXT) | instid1(SALU_CYCLE_1)
	s_and_b32 s29, s1, s2
	s_xor_b32 s2, s29, -1
	s_delay_alu instid0(SALU_CYCLE_1)
	s_and_saveexec_b32 s1, s2
; %bb.106:
	v_dual_lshlrev_b32 v6, 2, v25 :: v_dual_add_nc_u32 v44, 1, v25
	ds_load_b32 v6, v6 offset:19460
; %bb.107:
	s_or_b32 exec_lo, exec_lo, s1
	v_cmp_ge_i32_e64 s1, v43, v3
	s_wait_dscnt 0x0
	v_cmp_lt_i32_e64 s3, v6, v36
	v_cmp_ge_i32_e64 s2, v44, v7
	v_mov_b32_e32 v45, v43
	v_cndmask_b32_e64 v37, 0, 1, s1
	s_delay_alu instid0(VALU_DEP_4)
	v_cndmask_b32_e64 v38, 0, 1, s3
	s_or_b32 s3, s1, s2
	s_delay_alu instid0(VALU_DEP_1) | instid1(SALU_CYCLE_1)
	v_cndmask_b32_e64 v37, v38, v37, s3
	s_delay_alu instid0(VALU_DEP_1) | instskip(NEXT) | instid1(VALU_DEP_1)
	v_and_b32_e32 v37, 1, v37
	v_cmp_eq_u32_e64 s3, 1, v37
	v_mov_b32_e32 v37, v36
	s_xor_b32 s4, s3, -1
	s_delay_alu instid0(SALU_CYCLE_1)
	s_and_saveexec_b32 s3, s4
; %bb.108:
	v_dual_lshlrev_b32 v37, 2, v43 :: v_dual_add_nc_u32 v45, 1, v43
	ds_load_b32 v37, v37 offset:19460
; %bb.109:
	s_or_b32 exec_lo, exec_lo, s3
	v_cmp_lt_i32_e64 s3, v36, v6
	s_xor_b32 s1, s1, -1
	v_mov_b32_e32 v46, v44
	s_or_b32 s2, s2, s3
	s_delay_alu instid0(SALU_CYCLE_1) | instskip(NEXT) | instid1(SALU_CYCLE_1)
	s_and_b32 s30, s1, s2
	s_xor_b32 s2, s30, -1
	s_delay_alu instid0(SALU_CYCLE_1)
	s_and_saveexec_b32 s1, s2
; %bb.110:
	v_dual_lshlrev_b32 v6, 2, v44 :: v_dual_add_nc_u32 v46, 1, v44
	ds_load_b32 v6, v6 offset:19460
; %bb.111:
	s_or_b32 exec_lo, exec_lo, s1
	v_cmp_ge_i32_e64 s1, v45, v3
	s_wait_dscnt 0x0
	v_cmp_lt_i32_e64 s3, v6, v37
	v_cmp_ge_i32_e64 s2, v46, v7
	v_mov_b32_e32 v47, v45
	v_cndmask_b32_e64 v38, 0, 1, s1
	s_delay_alu instid0(VALU_DEP_4)
	v_cndmask_b32_e64 v39, 0, 1, s3
	s_or_b32 s3, s1, s2
	s_delay_alu instid0(VALU_DEP_1) | instid1(SALU_CYCLE_1)
	v_cndmask_b32_e64 v38, v39, v38, s3
	s_delay_alu instid0(VALU_DEP_1) | instskip(NEXT) | instid1(VALU_DEP_1)
	v_and_b32_e32 v38, 1, v38
	v_cmp_eq_u32_e64 s3, 1, v38
	v_mov_b32_e32 v38, v37
	s_xor_b32 s4, s3, -1
	s_delay_alu instid0(SALU_CYCLE_1)
	s_and_saveexec_b32 s3, s4
; %bb.112:
	v_dual_lshlrev_b32 v38, 2, v45 :: v_dual_add_nc_u32 v47, 1, v45
	ds_load_b32 v38, v38 offset:19460
; %bb.113:
	s_or_b32 exec_lo, exec_lo, s3
	v_cmp_lt_i32_e64 s3, v37, v6
	s_xor_b32 s1, s1, -1
	v_mov_b32_e32 v48, v46
	s_or_b32 s2, s2, s3
	s_delay_alu instid0(SALU_CYCLE_1) | instskip(NEXT) | instid1(SALU_CYCLE_1)
	s_and_b32 s31, s1, s2
	s_xor_b32 s2, s31, -1
	s_delay_alu instid0(SALU_CYCLE_1)
	s_and_saveexec_b32 s1, s2
; %bb.114:
	v_dual_lshlrev_b32 v6, 2, v46 :: v_dual_add_nc_u32 v48, 1, v46
	ds_load_b32 v6, v6 offset:19460
; %bb.115:
	s_or_b32 exec_lo, exec_lo, s1
	v_cmp_ge_i32_e64 s1, v47, v3
	s_wait_dscnt 0x0
	v_cmp_lt_i32_e64 s3, v6, v38
	v_cmp_ge_i32_e64 s2, v48, v7
	v_mov_b32_e32 v49, v47
	v_cndmask_b32_e64 v39, 0, 1, s1
	s_delay_alu instid0(VALU_DEP_4)
	v_cndmask_b32_e64 v40, 0, 1, s3
	s_or_b32 s3, s1, s2
	s_delay_alu instid0(VALU_DEP_1) | instid1(SALU_CYCLE_1)
	v_cndmask_b32_e64 v39, v40, v39, s3
	s_delay_alu instid0(VALU_DEP_1) | instskip(NEXT) | instid1(VALU_DEP_1)
	v_and_b32_e32 v39, 1, v39
	v_cmp_eq_u32_e64 s3, 1, v39
	v_mov_b32_e32 v39, v38
	s_xor_b32 s4, s3, -1
	s_delay_alu instid0(SALU_CYCLE_1)
	s_and_saveexec_b32 s3, s4
; %bb.116:
	v_dual_lshlrev_b32 v39, 2, v47 :: v_dual_add_nc_u32 v49, 1, v47
	ds_load_b32 v39, v39 offset:19460
; %bb.117:
	s_or_b32 exec_lo, exec_lo, s3
	v_cmp_lt_i32_e64 s3, v38, v6
	s_xor_b32 s1, s1, -1
	v_mov_b32_e32 v50, v48
	s_or_b32 s2, s2, s3
	s_delay_alu instid0(SALU_CYCLE_1) | instskip(NEXT) | instid1(SALU_CYCLE_1)
	s_and_b32 s33, s1, s2
	s_xor_b32 s2, s33, -1
	s_delay_alu instid0(SALU_CYCLE_1)
	s_and_saveexec_b32 s1, s2
; %bb.118:
	v_dual_lshlrev_b32 v6, 2, v48 :: v_dual_add_nc_u32 v50, 1, v48
	ds_load_b32 v6, v6 offset:19460
; %bb.119:
	s_or_b32 exec_lo, exec_lo, s1
	v_cmp_ge_i32_e64 s1, v49, v3
	s_wait_dscnt 0x0
	v_cmp_lt_i32_e64 s3, v6, v39
	v_cmp_ge_i32_e64 s2, v50, v7
	v_mov_b32_e32 v51, v49
	v_cndmask_b32_e64 v40, 0, 1, s1
	s_delay_alu instid0(VALU_DEP_4)
	v_cndmask_b32_e64 v41, 0, 1, s3
	s_or_b32 s3, s1, s2
	s_delay_alu instid0(VALU_DEP_1) | instid1(SALU_CYCLE_1)
	v_cndmask_b32_e64 v40, v41, v40, s3
	s_delay_alu instid0(VALU_DEP_1) | instskip(NEXT) | instid1(VALU_DEP_1)
	v_and_b32_e32 v40, 1, v40
	v_cmp_eq_u32_e64 s3, 1, v40
	v_mov_b32_e32 v40, v39
	s_xor_b32 s4, s3, -1
	s_delay_alu instid0(SALU_CYCLE_1)
	s_and_saveexec_b32 s3, s4
; %bb.120:
	v_dual_lshlrev_b32 v40, 2, v49 :: v_dual_add_nc_u32 v51, 1, v49
	ds_load_b32 v40, v40 offset:19460
; %bb.121:
	s_or_b32 exec_lo, exec_lo, s3
	v_cmp_lt_i32_e64 s3, v39, v6
	s_xor_b32 s1, s1, -1
	v_mov_b32_e32 v52, v50
	s_or_b32 s2, s2, s3
	s_delay_alu instid0(SALU_CYCLE_1) | instskip(NEXT) | instid1(SALU_CYCLE_1)
	s_and_b32 s34, s1, s2
	s_xor_b32 s2, s34, -1
	s_delay_alu instid0(SALU_CYCLE_1)
	s_and_saveexec_b32 s1, s2
; %bb.122:
	v_dual_lshlrev_b32 v6, 2, v50 :: v_dual_add_nc_u32 v52, 1, v50
	ds_load_b32 v6, v6 offset:19460
; %bb.123:
	s_or_b32 exec_lo, exec_lo, s1
	v_cmp_ge_i32_e64 s1, v51, v3
	s_wait_dscnt 0x0
	v_cmp_lt_i32_e64 s3, v6, v40
	v_cmp_ge_i32_e64 s2, v52, v7
	v_mov_b32_e32 v53, v51
	v_cndmask_b32_e64 v41, 0, 1, s1
	s_delay_alu instid0(VALU_DEP_4)
	v_cndmask_b32_e64 v42, 0, 1, s3
	s_or_b32 s3, s1, s2
	s_delay_alu instid0(VALU_DEP_1) | instid1(SALU_CYCLE_1)
	v_cndmask_b32_e64 v41, v42, v41, s3
	s_delay_alu instid0(VALU_DEP_1) | instskip(NEXT) | instid1(VALU_DEP_1)
	v_and_b32_e32 v41, 1, v41
	v_cmp_eq_u32_e64 s3, 1, v41
	v_mov_b32_e32 v41, v40
	s_xor_b32 s4, s3, -1
	s_delay_alu instid0(SALU_CYCLE_1)
	s_and_saveexec_b32 s3, s4
; %bb.124:
	v_dual_lshlrev_b32 v41, 2, v51 :: v_dual_add_nc_u32 v53, 1, v51
	ds_load_b32 v41, v41 offset:19460
; %bb.125:
	s_or_b32 exec_lo, exec_lo, s3
	v_cmp_lt_i32_e64 s3, v40, v6
	s_xor_b32 s1, s1, -1
	v_mov_b32_e32 v54, v52
	s_or_b32 s2, s2, s3
	s_delay_alu instid0(SALU_CYCLE_1) | instskip(NEXT) | instid1(SALU_CYCLE_1)
	s_and_b32 s35, s1, s2
	s_xor_b32 s2, s35, -1
	s_delay_alu instid0(SALU_CYCLE_1)
	s_and_saveexec_b32 s1, s2
; %bb.126:
	v_dual_lshlrev_b32 v6, 2, v52 :: v_dual_add_nc_u32 v54, 1, v52
	ds_load_b32 v6, v6 offset:19460
; %bb.127:
	s_or_b32 exec_lo, exec_lo, s1
	v_cmp_ge_i32_e64 s1, v53, v3
	s_wait_dscnt 0x0
	v_cmp_lt_i32_e64 s3, v6, v41
	v_cmp_ge_i32_e64 s2, v54, v7
	s_delay_alu instid0(VALU_DEP_3) | instskip(NEXT) | instid1(VALU_DEP_3)
	v_cndmask_b32_e64 v42, 0, 1, s1
	v_cndmask_b32_e64 v55, 0, 1, s3
	s_or_b32 s3, s1, s2
	s_delay_alu instid0(VALU_DEP_1) | instid1(SALU_CYCLE_1)
	v_dual_cndmask_b32 v42, v55, v42, s3 :: v_dual_mov_b32 v55, v53
	s_delay_alu instid0(VALU_DEP_1) | instskip(NEXT) | instid1(VALU_DEP_1)
	v_and_b32_e32 v42, 1, v42
	v_cmp_eq_u32_e64 s3, 1, v42
	v_mov_b32_e32 v42, v41
	s_xor_b32 s4, s3, -1
	s_delay_alu instid0(SALU_CYCLE_1)
	s_and_saveexec_b32 s3, s4
; %bb.128:
	v_dual_lshlrev_b32 v42, 2, v53 :: v_dual_add_nc_u32 v55, 1, v53
	ds_load_b32 v42, v42 offset:19460
; %bb.129:
	s_or_b32 exec_lo, exec_lo, s3
	v_cmp_lt_i32_e64 s3, v41, v6
	s_xor_b32 s1, s1, -1
	v_mov_b32_e32 v56, v54
	s_or_b32 s2, s2, s3
	s_delay_alu instid0(SALU_CYCLE_1) | instskip(NEXT) | instid1(SALU_CYCLE_1)
	s_and_b32 s36, s1, s2
	s_xor_b32 s2, s36, -1
	s_delay_alu instid0(SALU_CYCLE_1)
	s_and_saveexec_b32 s1, s2
; %bb.130:
	v_dual_lshlrev_b32 v6, 2, v54 :: v_dual_add_nc_u32 v56, 1, v54
	ds_load_b32 v6, v6 offset:19460
; %bb.131:
	s_or_b32 exec_lo, exec_lo, s1
	v_add_nc_u32_e32 v57, v56, v55
	v_add_nc_u32_e32 v58, v7, v3
	v_cmp_lt_i32_e64 s1, v55, v3
	v_cmp_ge_i32_e64 s2, v56, v7
	v_add_nc_u32_e32 v3, v54, v53
	v_add_nc_u32_e32 v7, v50, v49
	v_cmp_lt_i32_e64 s4, v57, v58
	v_dual_add_nc_u32 v47, v48, v47 :: v_dual_add_nc_u32 v0, v2, v0
	v_add_nc_u32_e32 v1, s21, v1
	s_wait_dscnt 0x0
	v_cmp_lt_i32_e64 s3, v42, v6
	s_and_b32 s38, s1, s4
	v_cmp_lt_i32_e64 s1, v3, v58
	v_dual_add_nc_u32 v3, v23, v22 :: v_dual_add_nc_u32 v6, v52, v51
	v_dual_add_nc_u32 v45, v46, v45 :: v_dual_add_nc_u32 v2, v9, v8
	v_mov_b32_e32 v9, 0
	s_delay_alu instid0(VALU_DEP_3)
	v_cmp_lt_i32_e64 s6, v3, v58
	v_dual_add_nc_u32 v3, v5, v4 :: v_dual_add_nc_u32 v4, v11, v10
	v_cmp_lt_i32_e64 s11, v0, v58
	v_cmp_lt_i32_e64 s13, v1, v58
	s_or_b32 s37, s2, s3
	v_cmp_lt_i32_e64 s9, v3, v58
	v_cmp_lt_i32_e64 s2, v6, v58
	;; [unrolled: 1-line block ×3, first 2 shown]
	v_dual_add_nc_u32 v6, v15, v14 :: v_dual_add_nc_u32 v7, v13, v12
	v_cmp_lt_i32_e64 s10, v4, v58
	v_cmp_lt_i32_e64 s12, v2, v58
	s_and_b32 s22, s9, s22
	s_and_b32 s11, s11, s23
	s_and_b32 s13, s13, vcc_lo
	v_cndmask_b32_e64 v0, 0, 4, s22
	v_cndmask_b32_e64 v1, 0, 2, s11
	;; [unrolled: 1-line block ×3, first 2 shown]
	v_cmp_lt_i32_e64 s7, v6, v58
	v_cmp_lt_i32_e64 s8, v7, v58
	s_and_b32 s9, s10, s25
	s_and_b32 s10, s12, s24
	v_cndmask_b32_e64 v3, 0, 16, s9
	v_cndmask_b32_e64 v4, 0, 8, s10
	v_or3_b32 v0, v1, v2, v0
	v_dual_add_nc_u32 v12, v44, v43 :: v_dual_add_nc_u32 v13, v25, v24
	s_and_b32 s7, s7, s27
	s_and_b32 s8, s8, s26
	v_cndmask_b32_e64 v1, 0, 64, s7
	v_cndmask_b32_e64 v2, 0, 32, s8
	v_or3_b32 v0, v0, v4, v3
	v_cmp_lt_i32_e32 vcc_lo, v12, v58
	v_cmp_lt_i32_e64 s7, v13, v58
	s_and_b32 s6, s6, s28
	v_cmp_lt_i32_e64 s4, v47, v58
	v_cndmask_b32_e64 v3, 0, 0x80, s6
	v_or3_b32 v48, v0, v2, v1
	s_and_b32 s6, vcc_lo, s30
	v_cmp_lt_i32_e64 s5, v45, v58
	v_cndmask_b32_e64 v0, 0, 0x200, s6
	s_and_b32 s6, s7, s29
	v_or_b32_e32 v47, v3, v48
	v_cndmask_b32_e64 v1, 0, 0x100, s6
	s_and_b32 s4, s4, s33
	s_and_b32 s2, s2, s35
	v_cndmask_b32_e64 v2, 0, 0x800, s4
	s_and_b32 s4, s5, s31
	v_or3_b32 v46, v1, v0, v47
	v_cndmask_b32_e64 v3, 0, 0x400, s4
	v_cndmask_b32_e64 v0, 0, 0x2000, s2
	s_and_b32 s2, s3, s34
	s_and_b32 s1, s1, s36
	v_cndmask_b32_e64 v1, 0, 0x1000, s2
	v_or3_b32 v45, v3, v2, v46
	s_and_b32 s2, s38, s37
	v_cndmask_b32_e64 v3, 0, 0x4000, s1
	v_cndmask_b32_e64 v2, 0, 0x8000, s2
	s_cmp_lg_u32 s20, 0
	v_or3_b32 v44, v1, v0, v45
	s_barrier_signal -1
	s_barrier_wait -1
	s_delay_alu instid0(VALU_DEP_1) | instskip(NEXT) | instid1(VALU_DEP_1)
	v_or3_b32 v43, v3, v2, v44
	v_bcnt_u32_b32 v8, v43, 0
	s_cbranch_scc0 .LBB25_188
; %bb.132:
	v_mbcnt_lo_u32_b32 v49, -1, 0
	s_delay_alu instid0(VALU_DEP_2) | instskip(SKIP_2) | instid1(VALU_DEP_4)
	v_mov_b64_e32 v[2:3], v[8:9]
	v_mov_b32_dpp v4, v8 row_shr:1 row_mask:0xf bank_mask:0xf
	v_mov_b32_dpp v7, v9 row_shr:1 row_mask:0xf bank_mask:0xf
	v_dual_mov_b32 v5, v9 :: v_dual_bitop2_b32 v10, 15, v49 bitop3:0x40
	v_mov_b32_e32 v0, v8
	s_mov_b32 s1, exec_lo
	s_delay_alu instid0(VALU_DEP_2)
	v_cmpx_ne_u32_e32 0, v10
; %bb.133:
	v_mov_b32_e32 v6, 0
	s_delay_alu instid0(VALU_DEP_1) | instskip(NEXT) | instid1(VALU_DEP_1)
	v_mov_b32_e32 v5, v6
	v_add_nc_u64_e32 v[0:1], v[4:5], v[8:9]
	s_delay_alu instid0(VALU_DEP_1) | instskip(NEXT) | instid1(VALU_DEP_1)
	v_add_nc_u64_e32 v[4:5], v[6:7], v[0:1]
	v_mov_b64_e32 v[2:3], v[4:5]
; %bb.134:
	s_or_b32 exec_lo, exec_lo, s1
	v_mov_b32_dpp v4, v0 row_shr:2 row_mask:0xf bank_mask:0xf
	v_mov_b32_dpp v7, v5 row_shr:2 row_mask:0xf bank_mask:0xf
	s_mov_b32 s1, exec_lo
	v_cmpx_lt_u32_e32 1, v10
; %bb.135:
	v_mov_b32_e32 v6, 0
	s_delay_alu instid0(VALU_DEP_1) | instskip(NEXT) | instid1(VALU_DEP_1)
	v_mov_b32_e32 v5, v6
	v_add_nc_u64_e32 v[0:1], v[2:3], v[4:5]
	s_delay_alu instid0(VALU_DEP_1) | instskip(NEXT) | instid1(VALU_DEP_1)
	v_add_nc_u64_e32 v[4:5], v[6:7], v[0:1]
	v_mov_b64_e32 v[2:3], v[4:5]
; %bb.136:
	s_or_b32 exec_lo, exec_lo, s1
	v_mov_b32_dpp v4, v0 row_shr:4 row_mask:0xf bank_mask:0xf
	v_mov_b32_dpp v7, v5 row_shr:4 row_mask:0xf bank_mask:0xf
	s_mov_b32 s1, exec_lo
	v_cmpx_lt_u32_e32 3, v10
	;; [unrolled: 14-line block ×3, first 2 shown]
; %bb.139:
	v_mov_b32_e32 v6, 0
	s_delay_alu instid0(VALU_DEP_1) | instskip(NEXT) | instid1(VALU_DEP_1)
	v_mov_b32_e32 v5, v6
	v_add_nc_u64_e32 v[0:1], v[2:3], v[4:5]
	s_delay_alu instid0(VALU_DEP_1) | instskip(NEXT) | instid1(VALU_DEP_1)
	v_add_nc_u64_e32 v[2:3], v[6:7], v[0:1]
	v_mov_b32_e32 v5, v3
; %bb.140:
	s_or_b32 exec_lo, exec_lo, s1
	ds_swizzle_b32 v4, v0 offset:swizzle(BROADCAST,32,15)
	ds_swizzle_b32 v7, v5 offset:swizzle(BROADCAST,32,15)
	v_and_b32_e32 v1, 16, v49
	s_mov_b32 s1, exec_lo
	s_delay_alu instid0(VALU_DEP_1)
	v_cmpx_ne_u32_e32 0, v1
	s_cbranch_execz .LBB25_142
; %bb.141:
	v_mov_b32_e32 v6, 0
	s_delay_alu instid0(VALU_DEP_1) | instskip(SKIP_1) | instid1(VALU_DEP_1)
	v_mov_b32_e32 v5, v6
	s_wait_dscnt 0x1
	v_add_nc_u64_e32 v[0:1], v[2:3], v[4:5]
	s_wait_dscnt 0x0
	s_delay_alu instid0(VALU_DEP_1)
	v_add_nc_u64_e32 v[2:3], v[6:7], v[0:1]
.LBB25_142:
	s_or_b32 exec_lo, exec_lo, s1
	v_and_b32_e32 v1, 0x3e0, v16
	s_wait_dscnt 0x1
	v_lshrrev_b32_e32 v4, 5, v16
	s_delay_alu instid0(VALU_DEP_2) | instskip(NEXT) | instid1(VALU_DEP_1)
	v_min_u32_e32 v1, 0xe0, v1
	v_or_b32_e32 v1, 31, v1
	s_delay_alu instid0(VALU_DEP_1) | instskip(NEXT) | instid1(VALU_DEP_4)
	v_cmp_eq_u32_e32 vcc_lo, v16, v1
	v_lshlrev_b32_e32 v1, 3, v4
	s_and_saveexec_b32 s1, vcc_lo
; %bb.143:
	ds_store_b64 v1, v[2:3] offset:18432
; %bb.144:
	s_or_b32 exec_lo, exec_lo, s1
	s_delay_alu instid0(SALU_CYCLE_1)
	s_mov_b32 s1, exec_lo
	s_wait_dscnt 0x0
	s_barrier_signal -1
	s_barrier_wait -1
	v_cmpx_gt_u32_e32 8, v16
	s_cbranch_execz .LBB25_152
; %bb.145:
	v_dual_lshlrev_b32 v13, 3, v16 :: v_dual_bitop2_b32 v12, 7, v49 bitop3:0x40
	s_mov_b32 s2, exec_lo
	ds_load_b64 v[2:3], v13 offset:18432
	s_wait_dscnt 0x0
	v_mov_b32_dpp v6, v2 row_shr:1 row_mask:0xf bank_mask:0xf
	v_mov_b32_dpp v11, v3 row_shr:1 row_mask:0xf bank_mask:0xf
	v_mov_b32_e32 v4, v2
	v_cmpx_ne_u32_e32 0, v12
; %bb.146:
	v_mov_b32_e32 v10, 0
	s_delay_alu instid0(VALU_DEP_1) | instskip(NEXT) | instid1(VALU_DEP_1)
	v_mov_b32_e32 v7, v10
	v_add_nc_u64_e32 v[4:5], v[2:3], v[6:7]
	s_delay_alu instid0(VALU_DEP_1)
	v_add_nc_u64_e32 v[2:3], v[10:11], v[4:5]
; %bb.147:
	s_or_b32 exec_lo, exec_lo, s2
	v_mov_b32_dpp v6, v4 row_shr:2 row_mask:0xf bank_mask:0xf
	s_delay_alu instid0(VALU_DEP_2)
	v_mov_b32_dpp v11, v3 row_shr:2 row_mask:0xf bank_mask:0xf
	s_mov_b32 s2, exec_lo
	v_cmpx_lt_u32_e32 1, v12
; %bb.148:
	v_mov_b32_e32 v10, 0
	s_delay_alu instid0(VALU_DEP_1) | instskip(NEXT) | instid1(VALU_DEP_1)
	v_mov_b32_e32 v7, v10
	v_add_nc_u64_e32 v[4:5], v[2:3], v[6:7]
	s_delay_alu instid0(VALU_DEP_1)
	v_add_nc_u64_e32 v[2:3], v[10:11], v[4:5]
; %bb.149:
	s_or_b32 exec_lo, exec_lo, s2
	v_add_nc_u32_e32 v10, 0x4800, v13
	v_mov_b32_dpp v4, v4 row_shr:4 row_mask:0xf bank_mask:0xf
	s_delay_alu instid0(VALU_DEP_3)
	v_mov_b32_dpp v7, v3 row_shr:4 row_mask:0xf bank_mask:0xf
	s_mov_b32 s2, exec_lo
	v_cmpx_lt_u32_e32 3, v12
; %bb.150:
	v_mov_b32_e32 v6, 0
	s_delay_alu instid0(VALU_DEP_1) | instskip(NEXT) | instid1(VALU_DEP_1)
	v_mov_b32_e32 v5, v6
	v_add_nc_u64_e32 v[2:3], v[2:3], v[4:5]
	s_delay_alu instid0(VALU_DEP_1)
	v_add_nc_u64_e32 v[2:3], v[2:3], v[6:7]
; %bb.151:
	s_or_b32 exec_lo, exec_lo, s2
	ds_store_b64 v10, v[2:3]
.LBB25_152:
	s_or_b32 exec_lo, exec_lo, s1
	s_delay_alu instid0(SALU_CYCLE_1)
	s_mov_b32 s2, exec_lo
	v_cmp_gt_u32_e32 vcc_lo, 32, v16
	s_wait_dscnt 0x0
	s_barrier_signal -1
	s_barrier_wait -1
                                        ; implicit-def: $vgpr10_vgpr11
	v_cmpx_lt_u32_e32 31, v16
	s_cbranch_execz .LBB25_154
; %bb.153:
	ds_load_b64 v[10:11], v1 offset:18424
	s_wait_dscnt 0x0
	v_add_nc_u32_e32 v0, v0, v10
.LBB25_154:
	s_or_b32 exec_lo, exec_lo, s2
	v_sub_co_u32 v1, s1, v49, 1
	s_delay_alu instid0(VALU_DEP_1) | instskip(NEXT) | instid1(VALU_DEP_1)
	v_cmp_gt_i32_e64 s2, 0, v1
	v_cndmask_b32_e64 v1, v1, v49, s2
	s_delay_alu instid0(VALU_DEP_1)
	v_lshlrev_b32_e32 v1, 2, v1
	ds_bpermute_b32 v50, v1, v0
	s_and_saveexec_b32 s2, vcc_lo
	s_cbranch_execz .LBB25_193
; %bb.155:
	v_mov_b32_e32 v3, 0
	ds_load_b64 v[0:1], v3 offset:18488
	s_and_saveexec_b32 s3, s1
	s_cbranch_execz .LBB25_157
; %bb.156:
	s_add_co_i32 s4, s20, 32
	s_mov_b32 s5, 0
	v_mov_b32_e32 v2, 1
	s_lshl_b64 s[4:5], s[4:5], 4
	s_delay_alu instid0(SALU_CYCLE_1) | instskip(NEXT) | instid1(SALU_CYCLE_1)
	s_add_nc_u64 s[4:5], s[16:17], s[4:5]
	v_mov_b64_e32 v[4:5], s[4:5]
	s_wait_dscnt 0x0
	;;#ASMSTART
	global_store_b128 v[4:5], v[0:3] off scope:SCOPE_DEV	
s_wait_storecnt 0x0
	;;#ASMEND
.LBB25_157:
	s_or_b32 exec_lo, exec_lo, s3
	v_xad_u32 v12, v49, -1, s20
	s_mov_b32 s4, 0
	s_mov_b32 s3, exec_lo
	s_delay_alu instid0(VALU_DEP_1) | instskip(NEXT) | instid1(VALU_DEP_1)
	v_add_nc_u32_e32 v2, 32, v12
	v_lshl_add_u64 v[2:3], v[2:3], 4, s[16:17]
	;;#ASMSTART
	global_load_b128 v[4:7], v[2:3] off scope:SCOPE_DEV	
s_wait_loadcnt 0x0
	;;#ASMEND
	v_and_b32_e32 v7, 0xff, v6
	s_delay_alu instid0(VALU_DEP_1)
	v_cmpx_eq_u16_e32 0, v7
	s_cbranch_execz .LBB25_160
.LBB25_158:                             ; =>This Inner Loop Header: Depth=1
	;;#ASMSTART
	global_load_b128 v[4:7], v[2:3] off scope:SCOPE_DEV	
s_wait_loadcnt 0x0
	;;#ASMEND
	v_and_b32_e32 v7, 0xff, v6
	s_delay_alu instid0(VALU_DEP_1) | instskip(SKIP_1) | instid1(SALU_CYCLE_1)
	v_cmp_ne_u16_e32 vcc_lo, 0, v7
	s_or_b32 s4, vcc_lo, s4
	s_and_not1_b32 exec_lo, exec_lo, s4
	s_cbranch_execnz .LBB25_158
; %bb.159:
	s_or_b32 exec_lo, exec_lo, s4
.LBB25_160:
	s_delay_alu instid0(SALU_CYCLE_1)
	s_or_b32 exec_lo, exec_lo, s3
	v_cmp_ne_u32_e32 vcc_lo, 31, v49
	v_and_b32_e32 v3, 0xff, v6
	v_lshlrev_b32_e64 v52, v49, -1
	s_mov_b32 s3, exec_lo
	v_add_co_ci_u32_e64 v2, null, 0, v49, vcc_lo
	s_delay_alu instid0(VALU_DEP_3) | instskip(NEXT) | instid1(VALU_DEP_2)
	v_cmp_eq_u16_e32 vcc_lo, 2, v3
	v_lshlrev_b32_e32 v51, 2, v2
	v_and_or_b32 v2, vcc_lo, v52, 0x80000000
	s_delay_alu instid0(VALU_DEP_1)
	v_ctz_i32_b32_e32 v7, v2
	v_mov_b32_e32 v2, v4
	ds_bpermute_b32 v14, v51, v4
	ds_bpermute_b32 v23, v51, v5
	v_cmpx_lt_u32_e64 v49, v7
	s_cbranch_execz .LBB25_162
; %bb.161:
	v_mov_b32_e32 v22, 0
	s_delay_alu instid0(VALU_DEP_1) | instskip(SKIP_1) | instid1(VALU_DEP_1)
	v_mov_b32_e32 v15, v22
	s_wait_dscnt 0x1
	v_add_nc_u64_e32 v[2:3], v[4:5], v[14:15]
	s_wait_dscnt 0x0
	s_delay_alu instid0(VALU_DEP_1)
	v_add_nc_u64_e32 v[4:5], v[22:23], v[2:3]
.LBB25_162:
	s_or_b32 exec_lo, exec_lo, s3
	v_cmp_gt_u32_e32 vcc_lo, 30, v49
	v_add_nc_u32_e32 v54, 2, v49
	s_mov_b32 s3, exec_lo
	v_cndmask_b32_e64 v3, 0, 2, vcc_lo
	s_delay_alu instid0(VALU_DEP_1)
	v_add_lshl_u32 v53, v3, v49, 2
	s_wait_dscnt 0x1
	ds_bpermute_b32 v14, v53, v2
	s_wait_dscnt 0x1
	ds_bpermute_b32 v23, v53, v5
	v_cmpx_le_u32_e64 v54, v7
	s_cbranch_execz .LBB25_164
; %bb.163:
	v_mov_b32_e32 v22, 0
	s_delay_alu instid0(VALU_DEP_1) | instskip(SKIP_1) | instid1(VALU_DEP_1)
	v_mov_b32_e32 v15, v22
	s_wait_dscnt 0x1
	v_add_nc_u64_e32 v[2:3], v[4:5], v[14:15]
	s_wait_dscnt 0x0
	s_delay_alu instid0(VALU_DEP_1)
	v_add_nc_u64_e32 v[4:5], v[22:23], v[2:3]
.LBB25_164:
	s_or_b32 exec_lo, exec_lo, s3
	v_cmp_gt_u32_e32 vcc_lo, 28, v49
	v_add_nc_u32_e32 v56, 4, v49
	s_mov_b32 s3, exec_lo
	v_cndmask_b32_e64 v3, 0, 4, vcc_lo
	s_delay_alu instid0(VALU_DEP_1)
	v_add_lshl_u32 v55, v3, v49, 2
	s_wait_dscnt 0x1
	ds_bpermute_b32 v14, v55, v2
	s_wait_dscnt 0x1
	ds_bpermute_b32 v23, v55, v5
	v_cmpx_le_u32_e64 v56, v7
	;; [unrolled: 23-line block ×3, first 2 shown]
	s_cbranch_execz .LBB25_168
; %bb.167:
	v_mov_b32_e32 v22, 0
	s_delay_alu instid0(VALU_DEP_1) | instskip(SKIP_1) | instid1(VALU_DEP_1)
	v_mov_b32_e32 v15, v22
	s_wait_dscnt 0x1
	v_add_nc_u64_e32 v[2:3], v[4:5], v[14:15]
	s_wait_dscnt 0x0
	s_delay_alu instid0(VALU_DEP_1)
	v_add_nc_u64_e32 v[4:5], v[22:23], v[2:3]
.LBB25_168:
	s_or_b32 exec_lo, exec_lo, s3
	v_lshl_or_b32 v59, v49, 2, 64
	v_add_nc_u32_e32 v60, 16, v49
	s_mov_b32 s3, exec_lo
	ds_bpermute_b32 v2, v59, v2
	ds_bpermute_b32 v15, v59, v5
	v_cmpx_le_u32_e64 v60, v7
	s_cbranch_execz .LBB25_170
; %bb.169:
	s_wait_dscnt 0x3
	v_mov_b32_e32 v14, 0
	s_delay_alu instid0(VALU_DEP_1) | instskip(SKIP_1) | instid1(VALU_DEP_1)
	v_mov_b32_e32 v3, v14
	s_wait_dscnt 0x1
	v_add_nc_u64_e32 v[2:3], v[4:5], v[2:3]
	s_wait_dscnt 0x0
	s_delay_alu instid0(VALU_DEP_1)
	v_add_nc_u64_e32 v[4:5], v[2:3], v[14:15]
.LBB25_170:
	s_or_b32 exec_lo, exec_lo, s3
	v_mov_b32_e32 v13, 0
	s_branch .LBB25_173
.LBB25_171:                             ;   in Loop: Header=BB25_173 Depth=1
	s_or_b32 exec_lo, exec_lo, s3
	s_delay_alu instid0(VALU_DEP_1)
	v_add_nc_u64_e32 v[4:5], v[4:5], v[2:3]
	v_subrev_nc_u32_e32 v12, 32, v12
	s_mov_b32 s3, 0
.LBB25_172:                             ;   in Loop: Header=BB25_173 Depth=1
	s_delay_alu instid0(SALU_CYCLE_1)
	s_and_b32 vcc_lo, exec_lo, s3
	s_cbranch_vccnz .LBB25_189
.LBB25_173:                             ; =>This Loop Header: Depth=1
                                        ;     Child Loop BB25_176 Depth 2
	s_wait_dscnt 0x1
	v_and_b32_e32 v2, 0xff, v6
	s_mov_b32 s3, -1
	s_delay_alu instid0(VALU_DEP_1)
	v_cmp_ne_u16_e32 vcc_lo, 2, v2
	v_mov_b64_e32 v[2:3], v[4:5]
                                        ; implicit-def: $vgpr4_vgpr5
	s_cmp_lg_u32 vcc_lo, exec_lo
	s_cbranch_scc1 .LBB25_172
; %bb.174:                              ;   in Loop: Header=BB25_173 Depth=1
	s_wait_dscnt 0x0
	v_lshl_add_u64 v[14:15], v[12:13], 4, s[16:17]
	;;#ASMSTART
	global_load_b128 v[4:7], v[14:15] off scope:SCOPE_DEV	
s_wait_loadcnt 0x0
	;;#ASMEND
	v_and_b32_e32 v7, 0xff, v6
	s_mov_b32 s3, exec_lo
	s_delay_alu instid0(VALU_DEP_1)
	v_cmpx_eq_u16_e32 0, v7
	s_cbranch_execz .LBB25_178
; %bb.175:                              ;   in Loop: Header=BB25_173 Depth=1
	s_mov_b32 s4, 0
.LBB25_176:                             ;   Parent Loop BB25_173 Depth=1
                                        ; =>  This Inner Loop Header: Depth=2
	;;#ASMSTART
	global_load_b128 v[4:7], v[14:15] off scope:SCOPE_DEV	
s_wait_loadcnt 0x0
	;;#ASMEND
	v_and_b32_e32 v7, 0xff, v6
	s_delay_alu instid0(VALU_DEP_1) | instskip(SKIP_1) | instid1(SALU_CYCLE_1)
	v_cmp_ne_u16_e32 vcc_lo, 0, v7
	s_or_b32 s4, vcc_lo, s4
	s_and_not1_b32 exec_lo, exec_lo, s4
	s_cbranch_execnz .LBB25_176
; %bb.177:                              ;   in Loop: Header=BB25_173 Depth=1
	s_or_b32 exec_lo, exec_lo, s4
.LBB25_178:                             ;   in Loop: Header=BB25_173 Depth=1
	s_delay_alu instid0(SALU_CYCLE_1)
	s_or_b32 exec_lo, exec_lo, s3
	v_and_b32_e32 v7, 0xff, v6
	ds_bpermute_b32 v22, v51, v4
	ds_bpermute_b32 v25, v51, v5
	v_mov_b32_e32 v14, v4
	s_mov_b32 s3, exec_lo
	v_cmp_eq_u16_e32 vcc_lo, 2, v7
	v_and_or_b32 v7, vcc_lo, v52, 0x80000000
	s_delay_alu instid0(VALU_DEP_1) | instskip(NEXT) | instid1(VALU_DEP_1)
	v_ctz_i32_b32_e32 v7, v7
	v_cmpx_lt_u32_e64 v49, v7
	s_cbranch_execz .LBB25_180
; %bb.179:                              ;   in Loop: Header=BB25_173 Depth=1
	v_dual_mov_b32 v23, v13 :: v_dual_mov_b32 v24, v13
	s_wait_dscnt 0x1
	s_delay_alu instid0(VALU_DEP_1) | instskip(SKIP_1) | instid1(VALU_DEP_1)
	v_add_nc_u64_e32 v[14:15], v[4:5], v[22:23]
	s_wait_dscnt 0x0
	v_add_nc_u64_e32 v[4:5], v[24:25], v[14:15]
.LBB25_180:                             ;   in Loop: Header=BB25_173 Depth=1
	s_or_b32 exec_lo, exec_lo, s3
	ds_bpermute_b32 v24, v53, v14
	ds_bpermute_b32 v23, v53, v5
	s_mov_b32 s3, exec_lo
	v_cmpx_le_u32_e64 v54, v7
	s_cbranch_execz .LBB25_182
; %bb.181:                              ;   in Loop: Header=BB25_173 Depth=1
	s_wait_dscnt 0x2
	v_dual_mov_b32 v25, v13 :: v_dual_mov_b32 v22, v13
	s_wait_dscnt 0x1
	s_delay_alu instid0(VALU_DEP_1) | instskip(SKIP_1) | instid1(VALU_DEP_1)
	v_add_nc_u64_e32 v[14:15], v[4:5], v[24:25]
	s_wait_dscnt 0x0
	v_add_nc_u64_e32 v[4:5], v[22:23], v[14:15]
.LBB25_182:                             ;   in Loop: Header=BB25_173 Depth=1
	s_or_b32 exec_lo, exec_lo, s3
	s_wait_dscnt 0x1
	ds_bpermute_b32 v24, v55, v14
	s_wait_dscnt 0x1
	ds_bpermute_b32 v23, v55, v5
	s_mov_b32 s3, exec_lo
	v_cmpx_le_u32_e64 v56, v7
	s_cbranch_execz .LBB25_184
; %bb.183:                              ;   in Loop: Header=BB25_173 Depth=1
	v_dual_mov_b32 v25, v13 :: v_dual_mov_b32 v22, v13
	s_wait_dscnt 0x1
	s_delay_alu instid0(VALU_DEP_1) | instskip(SKIP_1) | instid1(VALU_DEP_1)
	v_add_nc_u64_e32 v[14:15], v[4:5], v[24:25]
	s_wait_dscnt 0x0
	v_add_nc_u64_e32 v[4:5], v[22:23], v[14:15]
.LBB25_184:                             ;   in Loop: Header=BB25_173 Depth=1
	s_or_b32 exec_lo, exec_lo, s3
	s_wait_dscnt 0x1
	ds_bpermute_b32 v24, v57, v14
	s_wait_dscnt 0x1
	ds_bpermute_b32 v23, v57, v5
	s_mov_b32 s3, exec_lo
	v_cmpx_le_u32_e64 v58, v7
	s_cbranch_execz .LBB25_186
; %bb.185:                              ;   in Loop: Header=BB25_173 Depth=1
	v_dual_mov_b32 v25, v13 :: v_dual_mov_b32 v22, v13
	s_wait_dscnt 0x1
	s_delay_alu instid0(VALU_DEP_1) | instskip(SKIP_1) | instid1(VALU_DEP_1)
	v_add_nc_u64_e32 v[14:15], v[4:5], v[24:25]
	s_wait_dscnt 0x0
	v_add_nc_u64_e32 v[4:5], v[22:23], v[14:15]
.LBB25_186:                             ;   in Loop: Header=BB25_173 Depth=1
	s_or_b32 exec_lo, exec_lo, s3
	ds_bpermute_b32 v22, v59, v14
	ds_bpermute_b32 v15, v59, v5
	s_mov_b32 s3, exec_lo
	v_cmpx_le_u32_e64 v60, v7
	s_cbranch_execz .LBB25_171
; %bb.187:                              ;   in Loop: Header=BB25_173 Depth=1
	s_wait_dscnt 0x2
	v_dual_mov_b32 v23, v13 :: v_dual_mov_b32 v14, v13
	s_wait_dscnt 0x1
	s_delay_alu instid0(VALU_DEP_1) | instskip(SKIP_1) | instid1(VALU_DEP_1)
	v_add_nc_u64_e32 v[4:5], v[4:5], v[22:23]
	s_wait_dscnt 0x0
	v_add_nc_u64_e32 v[4:5], v[4:5], v[14:15]
	s_branch .LBB25_171
.LBB25_188:
                                        ; implicit-def: $vgpr0_vgpr1
                                        ; implicit-def: $vgpr4_vgpr5
	s_movk_i32 s1, 0x4840
	s_cbranch_execnz .LBB25_194
	s_branch .LBB25_217
.LBB25_189:
	s_and_saveexec_b32 s3, s1
	s_cbranch_execz .LBB25_191
; %bb.190:
	s_add_co_i32 s4, s20, 32
	s_mov_b32 s5, 0
	v_dual_mov_b32 v6, 2 :: v_dual_mov_b32 v7, 0
	s_lshl_b64 s[4:5], s[4:5], 4
	v_add_nc_u64_e32 v[4:5], v[2:3], v[0:1]
	s_add_nc_u64 s[4:5], s[16:17], s[4:5]
	s_delay_alu instid0(SALU_CYCLE_1)
	v_mov_b64_e32 v[12:13], s[4:5]
	;;#ASMSTART
	global_store_b128 v[12:13], v[4:7] off scope:SCOPE_DEV	
s_wait_storecnt 0x0
	;;#ASMEND
	ds_store_b128 v7, v[0:3] offset:18496
.LBB25_191:
	s_or_b32 exec_lo, exec_lo, s3
	s_delay_alu instid0(SALU_CYCLE_1)
	s_and_b32 exec_lo, exec_lo, s0
; %bb.192:
	v_mov_b32_e32 v0, 0
	ds_store_b64 v0, v[2:3] offset:18488
.LBB25_193:
	s_or_b32 exec_lo, exec_lo, s2
	v_dual_mov_b32 v0, 0 :: v_dual_cndmask_b32 v4, 0, v11, s1
	s_wait_dscnt 0x0
	s_barrier_signal -1
	s_barrier_wait -1
	ds_load_b64 v[2:3], v0 offset:18488
	s_wait_dscnt 0x0
	s_barrier_signal -1
	s_barrier_wait -1
	ds_load_b64 v[0:1], v0 offset:18504
	v_cndmask_b32_e64 v6, v50, v10, s1
	v_cndmask_b32_e64 v5, v4, 0, s0
	s_delay_alu instid0(VALU_DEP_2) | instskip(NEXT) | instid1(VALU_DEP_1)
	v_cndmask_b32_e64 v4, v6, 0, s0
	v_add_nc_u64_e32 v[4:5], v[2:3], v[4:5]
	s_movk_i32 s1, 0x4840
	s_branch .LBB25_217
.LBB25_194:
	v_mbcnt_lo_u32_b32 v10, -1, 0
	v_mov_b32_e32 v3, 0
	s_wait_dscnt 0x0
	v_mov_b64_e32 v[0:1], v[8:9]
	v_mov_b32_dpp v2, v8 row_shr:1 row_mask:0xf bank_mask:0xf
	s_mov_b32 s1, exec_lo
	v_and_b32_e32 v6, 15, v10
	v_mov_b32_dpp v5, v3 row_shr:1 row_mask:0xf bank_mask:0xf
	s_delay_alu instid0(VALU_DEP_2)
	v_cmpx_ne_u32_e32 0, v6
; %bb.195:
	v_mov_b32_e32 v4, 0
	s_delay_alu instid0(VALU_DEP_1) | instskip(NEXT) | instid1(VALU_DEP_1)
	v_mov_b32_e32 v3, v4
	v_add_nc_u64_e32 v[8:9], v[2:3], v[8:9]
	s_delay_alu instid0(VALU_DEP_1) | instskip(NEXT) | instid1(VALU_DEP_1)
	v_add_nc_u64_e32 v[2:3], v[4:5], v[8:9]
	v_mov_b64_e32 v[0:1], v[2:3]
; %bb.196:
	s_or_b32 exec_lo, exec_lo, s1
	v_mov_b32_dpp v2, v8 row_shr:2 row_mask:0xf bank_mask:0xf
	v_mov_b32_dpp v5, v3 row_shr:2 row_mask:0xf bank_mask:0xf
	s_mov_b32 s1, exec_lo
	v_cmpx_lt_u32_e32 1, v6
; %bb.197:
	v_mov_b32_e32 v4, 0
	s_delay_alu instid0(VALU_DEP_1) | instskip(NEXT) | instid1(VALU_DEP_1)
	v_mov_b32_e32 v3, v4
	v_add_nc_u64_e32 v[8:9], v[0:1], v[2:3]
	s_delay_alu instid0(VALU_DEP_1) | instskip(NEXT) | instid1(VALU_DEP_1)
	v_add_nc_u64_e32 v[2:3], v[4:5], v[8:9]
	v_mov_b64_e32 v[0:1], v[2:3]
; %bb.198:
	s_or_b32 exec_lo, exec_lo, s1
	v_mov_b32_dpp v2, v8 row_shr:4 row_mask:0xf bank_mask:0xf
	v_mov_b32_dpp v5, v3 row_shr:4 row_mask:0xf bank_mask:0xf
	s_mov_b32 s1, exec_lo
	v_cmpx_lt_u32_e32 3, v6
; %bb.199:
	v_mov_b32_e32 v4, 0
	s_delay_alu instid0(VALU_DEP_1) | instskip(NEXT) | instid1(VALU_DEP_1)
	v_mov_b32_e32 v3, v4
	v_add_nc_u64_e32 v[8:9], v[0:1], v[2:3]
	s_delay_alu instid0(VALU_DEP_1) | instskip(NEXT) | instid1(VALU_DEP_1)
	v_add_nc_u64_e32 v[2:3], v[4:5], v[8:9]
	v_mov_b64_e32 v[0:1], v[2:3]
; %bb.200:
	s_or_b32 exec_lo, exec_lo, s1
	v_mov_b32_dpp v2, v8 row_shr:8 row_mask:0xf bank_mask:0xf
	v_mov_b32_dpp v5, v3 row_shr:8 row_mask:0xf bank_mask:0xf
	s_mov_b32 s1, exec_lo
	v_cmpx_lt_u32_e32 7, v6
; %bb.201:
	v_mov_b32_e32 v4, 0
	s_delay_alu instid0(VALU_DEP_1) | instskip(NEXT) | instid1(VALU_DEP_1)
	v_mov_b32_e32 v3, v4
	v_add_nc_u64_e32 v[8:9], v[0:1], v[2:3]
	s_delay_alu instid0(VALU_DEP_1) | instskip(NEXT) | instid1(VALU_DEP_1)
	v_add_nc_u64_e32 v[0:1], v[4:5], v[8:9]
	v_mov_b32_e32 v3, v1
; %bb.202:
	s_or_b32 exec_lo, exec_lo, s1
	ds_swizzle_b32 v2, v8 offset:swizzle(BROADCAST,32,15)
	ds_swizzle_b32 v5, v3 offset:swizzle(BROADCAST,32,15)
	v_and_b32_e32 v3, 16, v10
	s_mov_b32 s1, exec_lo
	s_delay_alu instid0(VALU_DEP_1)
	v_cmpx_ne_u32_e32 0, v3
	s_cbranch_execz .LBB25_204
; %bb.203:
	v_mov_b32_e32 v4, 0
	s_delay_alu instid0(VALU_DEP_1) | instskip(SKIP_1) | instid1(VALU_DEP_1)
	v_mov_b32_e32 v3, v4
	s_wait_dscnt 0x1
	v_add_nc_u64_e32 v[8:9], v[0:1], v[2:3]
	s_wait_dscnt 0x0
	s_delay_alu instid0(VALU_DEP_1)
	v_add_nc_u64_e32 v[0:1], v[4:5], v[8:9]
.LBB25_204:
	s_or_b32 exec_lo, exec_lo, s1
	s_wait_dscnt 0x1
	v_and_b32_e32 v2, 0x3e0, v16
	s_mov_b32 s1, exec_lo
	v_lshrrev_b32_e32 v3, 5, v16
	s_delay_alu instid0(VALU_DEP_2) | instskip(NEXT) | instid1(VALU_DEP_1)
	v_min_u32_e32 v2, 0xe0, v2
	v_dual_lshlrev_b32 v9, 3, v3 :: v_dual_bitop2_b32 v2, 31, v2 bitop3:0x54
	s_delay_alu instid0(VALU_DEP_1)
	v_cmpx_eq_u32_e64 v16, v2
; %bb.205:
	ds_store_b64 v9, v[0:1] offset:18432
; %bb.206:
	s_or_b32 exec_lo, exec_lo, s1
	s_delay_alu instid0(SALU_CYCLE_1)
	s_mov_b32 s1, exec_lo
	s_wait_dscnt 0x0
	s_barrier_signal -1
	s_barrier_wait -1
	v_cmpx_gt_u32_e32 8, v16
	s_cbranch_execz .LBB25_214
; %bb.207:
	v_dual_lshlrev_b32 v12, 3, v16 :: v_dual_bitop2_b32 v11, 7, v10 bitop3:0x40
	s_mov_b32 s2, exec_lo
	ds_load_b64 v[0:1], v12 offset:18432
	s_wait_dscnt 0x0
	v_mov_b32_dpp v4, v0 row_shr:1 row_mask:0xf bank_mask:0xf
	v_mov_b32_dpp v7, v1 row_shr:1 row_mask:0xf bank_mask:0xf
	v_mov_b32_e32 v2, v0
	v_cmpx_ne_u32_e32 0, v11
; %bb.208:
	v_mov_b32_e32 v6, 0
	s_delay_alu instid0(VALU_DEP_1) | instskip(NEXT) | instid1(VALU_DEP_1)
	v_mov_b32_e32 v5, v6
	v_add_nc_u64_e32 v[2:3], v[0:1], v[4:5]
	s_delay_alu instid0(VALU_DEP_1)
	v_add_nc_u64_e32 v[0:1], v[6:7], v[2:3]
; %bb.209:
	s_or_b32 exec_lo, exec_lo, s2
	v_mov_b32_dpp v4, v2 row_shr:2 row_mask:0xf bank_mask:0xf
	s_delay_alu instid0(VALU_DEP_2)
	v_mov_b32_dpp v7, v1 row_shr:2 row_mask:0xf bank_mask:0xf
	s_mov_b32 s2, exec_lo
	v_cmpx_lt_u32_e32 1, v11
; %bb.210:
	v_mov_b32_e32 v6, 0
	s_delay_alu instid0(VALU_DEP_1) | instskip(NEXT) | instid1(VALU_DEP_1)
	v_mov_b32_e32 v5, v6
	v_add_nc_u64_e32 v[2:3], v[0:1], v[4:5]
	s_delay_alu instid0(VALU_DEP_1)
	v_add_nc_u64_e32 v[0:1], v[6:7], v[2:3]
; %bb.211:
	s_or_b32 exec_lo, exec_lo, s2
	v_add_nc_u32_e32 v6, 0x4800, v12
	v_mov_b32_dpp v2, v2 row_shr:4 row_mask:0xf bank_mask:0xf
	s_delay_alu instid0(VALU_DEP_3)
	v_mov_b32_dpp v5, v1 row_shr:4 row_mask:0xf bank_mask:0xf
	s_mov_b32 s2, exec_lo
	v_cmpx_lt_u32_e32 3, v11
; %bb.212:
	v_mov_b32_e32 v4, 0
	s_delay_alu instid0(VALU_DEP_1) | instskip(NEXT) | instid1(VALU_DEP_1)
	v_mov_b32_e32 v3, v4
	v_add_nc_u64_e32 v[0:1], v[0:1], v[2:3]
	s_delay_alu instid0(VALU_DEP_1)
	v_add_nc_u64_e32 v[0:1], v[0:1], v[4:5]
; %bb.213:
	s_or_b32 exec_lo, exec_lo, s2
	ds_store_b64 v6, v[0:1]
.LBB25_214:
	s_or_b32 exec_lo, exec_lo, s1
	v_mov_b64_e32 v[0:1], 0
	v_mov_b64_e32 v[2:3], 0
	s_mov_b32 s1, exec_lo
	s_wait_dscnt 0x0
	s_barrier_signal -1
	s_barrier_wait -1
	v_cmpx_lt_u32_e32 31, v16
; %bb.215:
	ds_load_b64 v[2:3], v9 offset:18424
; %bb.216:
	s_or_b32 exec_lo, exec_lo, s1
	s_wait_dscnt 0x0
	v_sub_co_u32 v3, vcc_lo, v10, 1
	s_delay_alu instid0(VALU_DEP_1) | instskip(NEXT) | instid1(VALU_DEP_1)
	v_cmp_gt_i32_e64 s1, 0, v3
	v_cndmask_b32_e64 v3, v3, v10, s1
	v_add_nc_u32_e32 v4, v8, v2
	s_movk_i32 s1, 0x4838
	s_delay_alu instid0(VALU_DEP_2)
	v_lshlrev_b32_e32 v3, 2, v3
	ds_bpermute_b32 v3, v3, v4
	s_wait_dscnt 0x0
	v_cndmask_b32_e32 v4, v3, v2, vcc_lo
.LBB25_217:
	s_wait_dscnt 0x0
	s_delay_alu instid0(VALU_DEP_1)
	v_dual_mov_b32 v2, s1 :: v_dual_sub_nc_u32 v4, v4, v0
	ds_load_b64 v[2:3], v2
	s_wait_dscnt 0x0
	s_barrier_signal -1
	s_barrier_wait -1
	s_and_saveexec_b32 s1, s13
	s_cbranch_execnz .LBB25_268
; %bb.218:
	s_or_b32 exec_lo, exec_lo, s1
	s_and_saveexec_b32 s1, s11
	s_cbranch_execnz .LBB25_269
.LBB25_219:
	s_or_b32 exec_lo, exec_lo, s1
	s_and_saveexec_b32 s1, s22
	s_cbranch_execnz .LBB25_270
.LBB25_220:
	s_or_b32 exec_lo, exec_lo, s1
	s_and_saveexec_b32 s1, s10
	s_cbranch_execnz .LBB25_271
.LBB25_221:
	s_or_b32 exec_lo, exec_lo, s1
	s_and_saveexec_b32 s1, s9
	s_cbranch_execnz .LBB25_272
.LBB25_222:
	s_or_b32 exec_lo, exec_lo, s1
	s_and_saveexec_b32 s1, s8
.LBB25_223:
	v_dual_lshlrev_b32 v5, 2, v4 :: v_dual_add_nc_u32 v4, 1, v4
	ds_store_b32 v5, v32 offset:19456
.LBB25_224:
	s_or_b32 exec_lo, exec_lo, s1
	v_and_b32_e32 v5, 64, v48
	s_mov_b32 s1, exec_lo
	s_delay_alu instid0(VALU_DEP_1)
	v_cmpx_ne_u32_e32 0, v5
; %bb.225:
	v_dual_lshlrev_b32 v5, 2, v4 :: v_dual_add_nc_u32 v4, 1, v4
	ds_store_b32 v5, v33 offset:19456
; %bb.226:
	s_or_b32 exec_lo, exec_lo, s1
	v_and_b32_e32 v5, 0x80, v47
	s_mov_b32 s1, exec_lo
	s_delay_alu instid0(VALU_DEP_1)
	v_cmpx_ne_u32_e32 0, v5
; %bb.227:
	v_dual_lshlrev_b32 v5, 2, v4 :: v_dual_add_nc_u32 v4, 1, v4
	ds_store_b32 v5, v34 offset:19456
; %bb.228:
	;; [unrolled: 9-line block ×9, first 2 shown]
	s_or_b32 exec_lo, exec_lo, s1
	v_and_b32_e32 v5, 0x8000, v43
	s_mov_b32 s1, exec_lo
	s_delay_alu instid0(VALU_DEP_1)
	v_cmpx_ne_u32_e32 0, v5
; %bb.243:
	v_lshlrev_b32_e32 v4, 2, v4
	ds_store_b32 v4, v42 offset:19456
; %bb.244:
	s_or_b32 exec_lo, exec_lo, s1
	s_delay_alu instid0(SALU_CYCLE_1)
	s_mov_b32 s1, exec_lo
	s_wait_dscnt 0x0
	s_barrier_signal -1
	s_barrier_wait -1
	v_cmpx_lt_i32_e64 v16, v2
	s_cbranch_execz .LBB25_252
; %bb.245:
	v_lshlrev_b64_e32 v[4:5], 2, v[0:1]
	v_xad_u32 v7, v16, -1, v2
	v_mov_b32_e32 v6, v16
	s_mov_b32 s3, -1
	s_mov_b32 s2, exec_lo
	s_delay_alu instid0(VALU_DEP_2)
	v_cmpx_lt_u32_e32 0xff, v7
	s_cbranch_execz .LBB25_249
; %bb.246:
	v_dual_mov_b32 v9, 0 :: v_dual_lshrrev_b32 v6, 8, v7
	v_mov_b64_e32 v[10:11], v[16:17]
	v_lshl_add_u32 v14, v16, 2, 0x4c00
	s_mov_b32 s3, 0
	s_delay_alu instid0(VALU_DEP_3) | instskip(SKIP_1) | instid1(VALU_DEP_2)
	v_add_nc_u32_e32 v12, 1, v6
	v_add_nc_u64_e32 v[6:7], s[18:19], v[4:5]
	v_and_b32_e32 v13, 0x1fffffe, v12
	s_delay_alu instid0(VALU_DEP_1)
	v_mov_b32_e32 v15, v13
.LBB25_247:                             ; =>This Inner Loop Header: Depth=1
	ds_load_2addr_stride64_b32 v[22:23], v14 offset1:4
	v_dual_mov_b32 v8, v10 :: v_dual_add_nc_u32 v15, -2, v15
	v_add_nc_u32_e32 v10, 0x200, v10
	v_add_nc_u32_e32 v14, 0x800, v14
	s_delay_alu instid0(VALU_DEP_3) | instskip(SKIP_2) | instid1(VALU_DEP_2)
	v_lshl_add_u64 v[24:25], v[8:9], 2, v[6:7]
	v_dual_mov_b32 v8, v11 :: v_dual_add_nc_u32 v11, 0x200, v11
	v_cmp_eq_u32_e32 vcc_lo, 0, v15
	v_lshl_add_u64 v[28:29], v[8:9], 2, v[6:7]
	s_wait_dscnt 0x0
	s_clause 0x1
	global_store_b32 v[24:25], v22, off
	global_store_b32 v[28:29], v23, off
	s_or_b32 s3, vcc_lo, s3
	s_wait_xcnt 0x0
	s_and_not1_b32 exec_lo, exec_lo, s3
	s_cbranch_execnz .LBB25_247
; %bb.248:
	s_or_b32 exec_lo, exec_lo, s3
	v_cmp_ne_u32_e32 vcc_lo, v12, v13
	v_lshl_add_u32 v6, v13, 8, v16
	s_or_not1_b32 s3, vcc_lo, exec_lo
.LBB25_249:
	s_or_b32 exec_lo, exec_lo, s2
	s_delay_alu instid0(SALU_CYCLE_1)
	s_and_b32 exec_lo, exec_lo, s3
	s_cbranch_execz .LBB25_252
; %bb.250:
	v_add_nc_u64_e32 v[4:5], s[18:19], v[4:5]
	v_mov_b32_e32 v7, 0
	v_lshl_add_u32 v8, v6, 2, 0x4c00
	s_mov_b32 s2, 0
	s_delay_alu instid0(VALU_DEP_2)
	v_lshl_add_u64 v[4:5], v[6:7], 2, v[4:5]
.LBB25_251:                             ; =>This Inner Loop Header: Depth=1
	ds_load_b32 v7, v8
	v_add_nc_u32_e32 v6, 0x100, v6
	v_add_nc_u32_e32 v8, 0x400, v8
	s_delay_alu instid0(VALU_DEP_2)
	v_cmp_ge_i32_e32 vcc_lo, v6, v2
	s_or_b32 s2, vcc_lo, s2
	s_wait_dscnt 0x0
	global_store_b32 v[4:5], v7, off
	s_wait_xcnt 0x0
	v_add_nc_u64_e32 v[4:5], 0x400, v[4:5]
	s_and_not1_b32 exec_lo, exec_lo, s2
	s_cbranch_execnz .LBB25_251
.LBB25_252:
	s_or_b32 exec_lo, exec_lo, s1
	s_and_saveexec_b32 s1, s0
	s_cbranch_execz .LBB25_254
; %bb.253:
	v_add_nc_u64_e32 v[0:1], v[2:3], v[0:1]
	v_mov_b32_e32 v2, 0
	global_store_b64 v2, v[0:1], s[14:15]
.LBB25_254:
	s_wait_xcnt 0x0
	s_or_b32 exec_lo, exec_lo, s1
	s_mov_b32 s0, 0
.LBB25_255:
	s_delay_alu instid0(SALU_CYCLE_1)
	s_and_b32 vcc_lo, exec_lo, s0
	s_cbranch_vccz .LBB25_482
; %bb.256:
	v_dual_mov_b32 v17, 0 :: v_dual_lshlrev_b32 v0, 2, v16
	v_add_nc_u32_e32 v22, 0x100, v16
	v_subrev_nc_u32_e32 v4, s21, v16
	v_cmp_gt_i32_e32 vcc_lo, s21, v16
	s_delay_alu instid0(VALU_DEP_4) | instskip(SKIP_3) | instid1(VALU_DEP_4)
	v_dual_mov_b32 v1, v17 :: v_dual_mov_b32 v5, v17
	v_mov_b32_e32 v7, v17
	v_subrev_nc_u32_e32 v6, s21, v22
	v_cmp_gt_i32_e64 s0, s21, v22
	v_add_nc_u64_e32 v[2:3], v[20:21], v[0:1]
	v_lshl_add_u64 v[4:5], v[4:5], 2, v[18:19]
	v_add_nc_u32_e32 v13, 0x200, v16
	v_lshl_add_u64 v[6:7], v[6:7], 2, v[18:19]
	v_add_nc_u32_e32 v23, 0x300, v16
	v_or_b32_e32 v24, 0x400, v16
	v_add_nc_u32_e32 v27, 0x900, v16
	v_add_nc_u64_e32 v[10:11], 0x400, v[2:3]
	v_dual_mov_b32 v9, v17 :: v_dual_cndmask_b32 v14, v4, v2
	v_subrev_nc_u32_e32 v8, s21, v13
	v_add_nc_u64_e32 v[20:21], 0x800, v[2:3]
	v_cndmask_b32_e32 v15, v5, v3, vcc_lo
	v_cmp_gt_i32_e32 vcc_lo, s21, v13
	v_cndmask_b32_e64 v7, v7, v11, s0
	v_lshl_add_u64 v[8:9], v[8:9], 2, v[18:19]
	v_cndmask_b32_e64 v6, v6, v10, s0
	v_subrev_nc_u32_e32 v12, s21, v23
	v_mov_b32_e32 v13, v17
	global_load_b32 v1, v[14:15], off
	global_load_b32 v4, v[6:7], off
	s_wait_xcnt 0x0
	v_dual_cndmask_b32 v7, v9, v21 :: v_dual_cndmask_b32 v6, v8, v20
	v_add_nc_u64_e32 v[8:9], 0xc00, v[2:3]
	v_lshl_add_u64 v[10:11], v[12:13], 2, v[18:19]
	v_subrev_nc_u32_e32 v12, s21, v24
	v_cmp_gt_i32_e32 vcc_lo, s21, v23
	v_add_nc_u32_e32 v20, 0x500, v16
	v_add_nc_u64_e32 v[14:15], 0x1000, v[2:3]
	v_cmp_gt_i32_e64 s0, s21, v24
	v_lshl_add_u64 v[12:13], v[12:13], 2, v[18:19]
	v_dual_cndmask_b32 v9, v11, v9 :: v_dual_cndmask_b32 v8, v10, v8
	v_subrev_nc_u32_e32 v10, s21, v20
	s_delay_alu instid0(VALU_DEP_3)
	v_dual_mov_b32 v11, v17 :: v_dual_cndmask_b32 v12, v12, v14, s0
	v_cmp_gt_i32_e32 vcc_lo, s21, v20
	global_load_b32 v5, v[6:7], off
	global_load_b32 v6, v[8:9], off
	v_lshl_add_u64 v[10:11], v[10:11], 2, v[18:19]
	v_cndmask_b32_e64 v13, v13, v15, s0
	v_add_nc_u64_e32 v[14:15], 0x1400, v[2:3]
	v_add_nc_u32_e32 v23, 0x700, v16
	v_add_nc_u64_e32 v[24:25], 0x2400, v[2:3]
	v_add_nc_u64_e32 v[28:29], 0x2c00, v[2:3]
	;; [unrolled: 1-line block ×4, first 2 shown]
	v_cmp_gt_i32_e64 s0, s21, v23
	s_wait_xcnt 0x0
	v_dual_cndmask_b32 v9, v11, v15 :: v_dual_cndmask_b32 v8, v10, v14
	v_add_nc_u64_e32 v[10:11], 0x1800, v[2:3]
	v_add_nc_u32_e32 v21, 0x600, v16
	global_load_b32 v7, v[12:13], off
	s_wait_xcnt 0x0
	v_dual_mov_b32 v13, v17 :: v_dual_mov_b32 v15, v17
	v_subrev_nc_u32_e32 v14, s21, v23
	v_subrev_nc_u32_e32 v12, s21, v21
	v_cmp_gt_i32_e32 vcc_lo, s21, v21
	v_add_nc_u64_e32 v[20:21], 0x1c00, v[2:3]
	v_or_b32_e32 v23, 0x800, v16
	v_lshl_add_u64 v[14:15], v[14:15], 2, v[18:19]
	v_lshl_add_u64 v[12:13], v[12:13], 2, v[18:19]
	global_load_b32 v8, v[8:9], off
	v_mov_b32_e32 v35, v17
	v_dual_cndmask_b32 v11, v13, v11, vcc_lo :: v_dual_cndmask_b32 v13, v15, v21, s0
	v_dual_cndmask_b32 v10, v12, v10, vcc_lo :: v_dual_cndmask_b32 v12, v14, v20, s0
	v_mov_b32_e32 v15, v17
	v_subrev_nc_u32_e32 v14, s21, v23
	v_add_nc_u64_e32 v[20:21], 0x2000, v[2:3]
	global_load_b32 v9, v[10:11], off
	global_load_b32 v10, v[12:13], off
	s_wait_xcnt 0x0
	v_subrev_nc_u32_e32 v12, s21, v27
	v_lshl_add_u64 v[14:15], v[14:15], 2, v[18:19]
	v_cmp_gt_i32_e32 vcc_lo, s21, v23
	v_mov_b32_e32 v13, v17
	v_cmp_gt_i32_e64 s0, s21, v27
	v_add_nc_u32_e32 v23, 0xa00, v16
	v_add_nc_u32_e32 v27, 0xe00, v16
	v_cndmask_b32_e32 v15, v15, v21, vcc_lo
	v_lshl_add_u64 v[12:13], v[12:13], 2, v[18:19]
	v_cndmask_b32_e32 v14, v14, v20, vcc_lo
	v_cmp_gt_i32_e32 vcc_lo, s21, v23
	v_subrev_nc_u32_e32 v34, s21, v27
	v_cmp_gt_i32_e64 s1, s21, v27
	v_dual_cndmask_b32 v21, v13, v25, s0 :: v_dual_cndmask_b32 v20, v12, v24, s0
	v_mov_b32_e32 v25, v17
	v_subrev_nc_u32_e32 v24, s21, v23
	v_add_nc_u32_e32 v13, 0xb00, v16
	global_load_b32 v11, v[14:15], off
	global_load_b32 v12, v[20:21], off
	s_wait_xcnt 0x1
	v_add_nc_u64_e32 v[14:15], 0x2800, v[2:3]
	v_or_b32_e32 v23, 0xc00, v16
	s_wait_xcnt 0x0
	v_lshl_add_u64 v[20:21], v[24:25], 2, v[18:19]
	v_subrev_nc_u32_e32 v24, s21, v13
	v_lshl_add_u64 v[34:35], v[34:35], 2, v[18:19]
	s_delay_alu instid0(VALU_DEP_3) | instskip(NEXT) | instid1(VALU_DEP_3)
	v_cndmask_b32_e32 v30, v20, v14, vcc_lo
	v_lshl_add_u64 v[24:25], v[24:25], 2, v[18:19]
	v_cndmask_b32_e32 v31, v21, v15, vcc_lo
	v_cmp_gt_i32_e32 vcc_lo, s21, v13
	v_subrev_nc_u32_e32 v14, s21, v23
	v_mov_b32_e32 v15, v17
	v_add_nc_u64_e32 v[20:21], 0x3000, v[2:3]
	v_add_nc_u32_e32 v13, 0xd00, v16
	v_dual_cndmask_b32 v25, v25, v29 :: v_dual_cndmask_b32 v24, v24, v28
	v_mov_b32_e32 v29, v17
	v_lshl_add_u64 v[14:15], v[14:15], 2, v[18:19]
	v_cmp_gt_i32_e32 vcc_lo, s21, v23
	v_subrev_nc_u32_e32 v28, s21, v13
	v_cmp_gt_i32_e64 s0, s21, v13
	v_dual_cndmask_b32 v35, v35, v39, s1 :: v_dual_cndmask_b32 v34, v34, v38, s1
	v_cndmask_b32_e32 v33, v15, v21, vcc_lo
	s_delay_alu instid0(VALU_DEP_4) | instskip(SKIP_1) | instid1(VALU_DEP_2)
	v_lshl_add_u64 v[28:29], v[28:29], 2, v[18:19]
	v_dual_cndmask_b32 v32, v14, v20 :: v_dual_add_nc_u32 v23, s21, v26
	v_dual_cndmask_b32 v29, v29, v37, s0 :: v_dual_cndmask_b32 v28, v28, v36, s0
	global_load_b32 v15, v[30:31], off
	global_load_b32 v20, v[24:25], off
	;; [unrolled: 1-line block ×5, first 2 shown]
	s_wait_xcnt 0x3
	v_dual_mov_b32 v24, 0 :: v_dual_add_nc_u32 v25, 0xf00, v16
	s_mov_b32 s0, exec_lo
	s_wait_xcnt 0x0
	s_delay_alu instid0(VALU_DEP_1)
	v_cmpx_lt_i32_e64 v25, v23
	s_cbranch_execz .LBB25_258
; %bb.257:
	v_subrev_nc_u32_e32 v28, s21, v25
	v_add_nc_u64_e32 v[2:3], 0x3c00, v[2:3]
	v_cmp_gt_i32_e32 vcc_lo, s21, v25
	v_mov_b32_e32 v29, 0
	s_delay_alu instid0(VALU_DEP_1) | instskip(NEXT) | instid1(VALU_DEP_1)
	v_lshl_add_u64 v[18:19], v[28:29], 2, v[18:19]
	v_dual_cndmask_b32 v3, v19, v3 :: v_dual_cndmask_b32 v2, v18, v2
	global_load_b32 v24, v[2:3], off
.LBB25_258:
	s_wait_xcnt 0x0
	s_or_b32 exec_lo, exec_lo, s0
	v_lshlrev_b32_e32 v2, 4, v16
	s_wait_loadcnt 0xd
	ds_store_2addr_stride64_b32 v0, v1, v4 offset0:4 offset1:8
	s_wait_loadcnt 0xb
	ds_store_2addr_stride64_b32 v0, v5, v6 offset0:12 offset1:16
	s_lshl_b32 s1, s21, 2
	s_mov_b32 s2, 0
	s_mov_b32 s0, exec_lo
	v_min_i32_e32 v2, v23, v2
	s_wait_loadcnt 0x9
	ds_store_2addr_stride64_b32 v0, v7, v8 offset0:20 offset1:24
	s_wait_loadcnt 0x7
	ds_store_2addr_stride64_b32 v0, v9, v10 offset0:28 offset1:32
	;; [unrolled: 2-line block ×6, first 2 shown]
	s_wait_storecnt_dscnt 0x0
	s_barrier_signal -1
	v_sub_nc_u32_e32 v1, v2, v26
	v_min_i32_e32 v3, s21, v2
	s_barrier_wait -1
	s_delay_alu instid0(VALU_DEP_2) | instskip(NEXT) | instid1(VALU_DEP_1)
	v_max_i32_e32 v1, 0, v1
	v_cmpx_lt_i32_e64 v1, v3
	s_cbranch_execz .LBB25_262
; %bb.259:
	v_lshlrev_b32_e32 v4, 2, v2
	s_delay_alu instid0(VALU_DEP_1)
	v_add3_u32 v4, s1, v4, 0x400
.LBB25_260:                             ; =>This Inner Loop Header: Depth=1
	v_add_nc_u32_e32 v5, v3, v1
	s_delay_alu instid0(VALU_DEP_1) | instskip(NEXT) | instid1(VALU_DEP_1)
	v_lshrrev_b32_e32 v5, 1, v5
	v_not_b32_e32 v6, v5
	v_dual_lshlrev_b32 v7, 2, v5 :: v_dual_add_nc_u32 v8, 1, v5
	s_delay_alu instid0(VALU_DEP_2)
	v_lshl_add_u32 v6, v6, 2, v4
	ds_load_b32 v7, v7 offset:1024
	ds_load_b32 v6, v6
	s_wait_dscnt 0x0
	v_cmp_lt_i32_e32 vcc_lo, v6, v7
	v_cndmask_b32_e32 v3, v3, v5, vcc_lo
	v_cndmask_b32_e32 v1, v8, v1, vcc_lo
	s_delay_alu instid0(VALU_DEP_1) | instskip(SKIP_1) | instid1(SALU_CYCLE_1)
	v_cmp_ge_i32_e32 vcc_lo, v1, v3
	s_or_b32 s2, vcc_lo, s2
	s_and_not1_b32 exec_lo, exec_lo, s2
	s_cbranch_execnz .LBB25_260
; %bb.261:
	s_or_b32 exec_lo, exec_lo, s2
.LBB25_262:
	s_delay_alu instid0(SALU_CYCLE_1) | instskip(SKIP_2) | instid1(VALU_DEP_1)
	s_or_b32 exec_lo, exec_lo, s0
	v_dual_sub_nc_u32 v6, v2, v1 :: v_dual_mov_b32 v4, 0
	s_mov_b32 s2, exec_lo
	v_cmpx_lt_i32_e64 v6, v26
	s_cbranch_execz .LBB25_297
; %bb.263:
	v_lshl_add_u32 v4, v6, 2, s1
	v_dual_mov_b32 v3, 0 :: v_dual_mov_b32 v7, 0
	s_mov_b32 s0, exec_lo
	ds_load_b32 v5, v4 offset:1024
	v_cmpx_lt_i32_e32 0, v1
	s_cbranch_execnz .LBB25_273
; %bb.264:
	s_or_b32 exec_lo, exec_lo, s0
	s_delay_alu instid0(SALU_CYCLE_1)
	s_mov_b32 s0, exec_lo
	v_cmpx_lt_i32_e64 v3, v7
	s_cbranch_execnz .LBB25_274
.LBB25_265:
	s_or_b32 exec_lo, exec_lo, s0
	s_delay_alu instid0(SALU_CYCLE_1)
	s_mov_b32 s0, exec_lo
	v_cmpx_lt_i32_e64 v3, v7
	s_cbranch_execnz .LBB25_275
.LBB25_266:
	s_or_b32 exec_lo, exec_lo, s0
	s_delay_alu instid0(SALU_CYCLE_1)
	s_mov_b32 s0, exec_lo
	v_cmpx_lt_i32_e64 v3, v7
	s_cbranch_execnz .LBB25_276
.LBB25_267:
	s_or_b32 exec_lo, exec_lo, s0
	s_delay_alu instid0(SALU_CYCLE_1)
	s_mov_b32 s0, exec_lo
	v_cmpx_lt_i32_e64 v3, v7
	s_cbranch_execnz .LBB25_277
	s_branch .LBB25_280
.LBB25_268:
	v_dual_add_nc_u32 v5, 1, v4 :: v_dual_lshlrev_b32 v6, 2, v4
	s_delay_alu instid0(VALU_DEP_1)
	v_mov_b32_e32 v4, v5
	ds_store_b32 v6, v27 offset:19456
	s_or_b32 exec_lo, exec_lo, s1
	s_and_saveexec_b32 s1, s11
	s_cbranch_execz .LBB25_219
.LBB25_269:
	v_dual_lshlrev_b32 v5, 2, v4 :: v_dual_add_nc_u32 v4, 1, v4
	ds_store_b32 v5, v28 offset:19456
	s_or_b32 exec_lo, exec_lo, s1
	s_and_saveexec_b32 s1, s22
	s_cbranch_execz .LBB25_220
.LBB25_270:
	v_dual_lshlrev_b32 v5, 2, v4 :: v_dual_add_nc_u32 v4, 1, v4
	ds_store_b32 v5, v29 offset:19456
	s_or_b32 exec_lo, exec_lo, s1
	s_and_saveexec_b32 s1, s10
	s_cbranch_execz .LBB25_221
.LBB25_271:
	v_dual_lshlrev_b32 v5, 2, v4 :: v_dual_add_nc_u32 v4, 1, v4
	ds_store_b32 v5, v30 offset:19456
	s_or_b32 exec_lo, exec_lo, s1
	s_and_saveexec_b32 s1, s9
	s_cbranch_execz .LBB25_222
.LBB25_272:
	v_dual_lshlrev_b32 v5, 2, v4 :: v_dual_add_nc_u32 v4, 1, v4
	ds_store_b32 v5, v31 offset:19456
	s_or_b32 exec_lo, exec_lo, s1
	s_and_saveexec_b32 s1, s8
	s_cbranch_execnz .LBB25_223
	s_branch .LBB25_224
.LBB25_273:
	v_mul_lo_u32 v3, 0x1ff, v1
	s_delay_alu instid0(VALU_DEP_1) | instskip(NEXT) | instid1(VALU_DEP_1)
	v_ashrrev_i32_e32 v7, 9, v3
	v_dual_lshlrev_b32 v3, 2, v7 :: v_dual_add_nc_u32 v8, 1, v7
	ds_load_b32 v3, v3 offset:1024
	s_wait_dscnt 0x0
	v_cmp_lt_i32_e32 vcc_lo, v3, v5
	v_dual_cndmask_b32 v3, 0, v8, vcc_lo :: v_dual_cndmask_b32 v7, v7, v1, vcc_lo
	s_or_b32 exec_lo, exec_lo, s0
	s_delay_alu instid0(SALU_CYCLE_1) | instskip(NEXT) | instid1(VALU_DEP_1)
	s_mov_b32 s0, exec_lo
	v_cmpx_lt_i32_e64 v3, v7
	s_cbranch_execz .LBB25_265
.LBB25_274:
	v_sub_nc_u32_e32 v8, v3, v7
	s_delay_alu instid0(VALU_DEP_1) | instskip(NEXT) | instid1(VALU_DEP_1)
	v_lshl_add_u32 v8, v7, 7, v8
	v_ashrrev_i32_e32 v8, 7, v8
	s_delay_alu instid0(VALU_DEP_1)
	v_dual_lshlrev_b32 v9, 2, v8 :: v_dual_add_nc_u32 v10, 1, v8
	ds_load_b32 v9, v9 offset:1024
	s_wait_dscnt 0x0
	v_cmp_lt_i32_e32 vcc_lo, v9, v5
	v_dual_cndmask_b32 v3, v3, v10, vcc_lo :: v_dual_cndmask_b32 v7, v8, v7, vcc_lo
	s_or_b32 exec_lo, exec_lo, s0
	s_delay_alu instid0(SALU_CYCLE_1) | instskip(NEXT) | instid1(VALU_DEP_1)
	s_mov_b32 s0, exec_lo
	v_cmpx_lt_i32_e64 v3, v7
	s_cbranch_execz .LBB25_266
.LBB25_275:
	v_sub_nc_u32_e32 v8, v3, v7
	s_delay_alu instid0(VALU_DEP_1) | instskip(NEXT) | instid1(VALU_DEP_1)
	v_lshl_add_u32 v8, v7, 5, v8
	v_ashrrev_i32_e32 v8, 5, v8
	s_delay_alu instid0(VALU_DEP_1)
	v_dual_lshlrev_b32 v9, 2, v8 :: v_dual_add_nc_u32 v10, 1, v8
	ds_load_b32 v9, v9 offset:1024
	s_wait_dscnt 0x0
	v_cmp_lt_i32_e32 vcc_lo, v9, v5
	v_dual_cndmask_b32 v3, v3, v10, vcc_lo :: v_dual_cndmask_b32 v7, v8, v7, vcc_lo
	s_or_b32 exec_lo, exec_lo, s0
	s_delay_alu instid0(SALU_CYCLE_1) | instskip(NEXT) | instid1(VALU_DEP_1)
	s_mov_b32 s0, exec_lo
	v_cmpx_lt_i32_e64 v3, v7
	s_cbranch_execz .LBB25_267
.LBB25_276:
	v_sub_nc_u32_e32 v8, v3, v7
	s_delay_alu instid0(VALU_DEP_1) | instskip(NEXT) | instid1(VALU_DEP_1)
	v_lshl_add_u32 v8, v7, 4, v8
	v_ashrrev_i32_e32 v8, 4, v8
	s_delay_alu instid0(VALU_DEP_1)
	v_dual_lshlrev_b32 v9, 2, v8 :: v_dual_add_nc_u32 v10, 1, v8
	ds_load_b32 v9, v9 offset:1024
	s_wait_dscnt 0x0
	v_cmp_lt_i32_e32 vcc_lo, v9, v5
	v_dual_cndmask_b32 v3, v3, v10, vcc_lo :: v_dual_cndmask_b32 v7, v8, v7, vcc_lo
	s_or_b32 exec_lo, exec_lo, s0
	s_delay_alu instid0(SALU_CYCLE_1) | instskip(NEXT) | instid1(VALU_DEP_1)
	s_mov_b32 s0, exec_lo
	v_cmpx_lt_i32_e64 v3, v7
	s_cbranch_execz .LBB25_280
.LBB25_277:
	s_mov_b32 s3, 0
.LBB25_278:                             ; =>This Inner Loop Header: Depth=1
	v_sub_nc_u32_e32 v8, v3, v7
	s_delay_alu instid0(VALU_DEP_1) | instskip(NEXT) | instid1(VALU_DEP_1)
	v_lshl_add_u32 v8, v7, 1, v8
	v_ashrrev_i32_e32 v8, 1, v8
	s_delay_alu instid0(VALU_DEP_1) | instskip(SKIP_4) | instid1(VALU_DEP_1)
	v_dual_lshlrev_b32 v9, 2, v8 :: v_dual_add_nc_u32 v10, 1, v8
	ds_load_b32 v9, v9 offset:1024
	s_wait_dscnt 0x0
	v_cmp_lt_i32_e32 vcc_lo, v9, v5
	v_dual_cndmask_b32 v3, v3, v10, vcc_lo :: v_dual_cndmask_b32 v7, v8, v7, vcc_lo
	v_cmp_ge_i32_e32 vcc_lo, v3, v7
	s_or_b32 s3, vcc_lo, s3
	s_delay_alu instid0(SALU_CYCLE_1)
	s_and_not1_b32 exec_lo, exec_lo, s3
	s_cbranch_execnz .LBB25_278
; %bb.279:
	s_or_b32 exec_lo, exec_lo, s3
.LBB25_280:
	s_delay_alu instid0(SALU_CYCLE_1)
	s_or_b32 exec_lo, exec_lo, s0
	v_dual_mov_b32 v7, 0 :: v_dual_mov_b32 v8, v6
	s_mov_b32 s0, exec_lo
	v_cmpx_lt_i32_e32 0, v6
	s_cbranch_execnz .LBB25_285
; %bb.281:
	s_or_b32 exec_lo, exec_lo, s0
	s_delay_alu instid0(SALU_CYCLE_1)
	s_mov_b32 s0, exec_lo
	v_cmpx_lt_i32_e64 v7, v8
	s_cbranch_execnz .LBB25_286
.LBB25_282:
	s_or_b32 exec_lo, exec_lo, s0
	s_delay_alu instid0(SALU_CYCLE_1)
	s_mov_b32 s0, exec_lo
	v_cmpx_lt_i32_e64 v7, v8
	s_cbranch_execnz .LBB25_287
.LBB25_283:
	s_or_b32 exec_lo, exec_lo, s0
	s_delay_alu instid0(SALU_CYCLE_1)
	s_mov_b32 s0, exec_lo
	v_cmpx_lt_i32_e64 v7, v8
	s_cbranch_execnz .LBB25_288
.LBB25_284:
	s_or_b32 exec_lo, exec_lo, s0
	s_delay_alu instid0(SALU_CYCLE_1)
	s_mov_b32 s0, exec_lo
	v_cmpx_lt_i32_e64 v7, v8
	s_cbranch_execnz .LBB25_289
	s_branch .LBB25_292
.LBB25_285:
	v_mul_lo_u32 v7, 0x1ff, v6
	s_delay_alu instid0(VALU_DEP_1) | instskip(NEXT) | instid1(VALU_DEP_1)
	v_lshrrev_b32_e32 v8, 9, v7
	v_lshl_add_u32 v7, v8, 2, s1
	ds_load_b32 v7, v7 offset:1024
	s_wait_dscnt 0x0
	v_cmp_lt_i32_e32 vcc_lo, v7, v5
	v_add_nc_u32_e32 v9, 1, v8
	s_delay_alu instid0(VALU_DEP_1) | instskip(SKIP_1) | instid1(SALU_CYCLE_1)
	v_dual_cndmask_b32 v7, 0, v9 :: v_dual_cndmask_b32 v8, v8, v6
	s_or_b32 exec_lo, exec_lo, s0
	s_mov_b32 s0, exec_lo
	s_delay_alu instid0(VALU_DEP_1)
	v_cmpx_lt_i32_e64 v7, v8
	s_cbranch_execz .LBB25_282
.LBB25_286:
	v_sub_nc_u32_e32 v9, v7, v8
	s_delay_alu instid0(VALU_DEP_1) | instskip(NEXT) | instid1(VALU_DEP_1)
	v_lshl_add_u32 v9, v8, 7, v9
	v_ashrrev_i32_e32 v9, 7, v9
	s_delay_alu instid0(VALU_DEP_1) | instskip(SKIP_4) | instid1(VALU_DEP_1)
	v_lshl_add_u32 v10, v9, 2, s1
	ds_load_b32 v10, v10 offset:1024
	s_wait_dscnt 0x0
	v_cmp_lt_i32_e32 vcc_lo, v10, v5
	v_dual_cndmask_b32 v8, v9, v8 :: v_dual_add_nc_u32 v11, 1, v9
	v_cndmask_b32_e32 v7, v7, v11, vcc_lo
	s_or_b32 exec_lo, exec_lo, s0
	s_delay_alu instid0(SALU_CYCLE_1) | instskip(NEXT) | instid1(VALU_DEP_1)
	s_mov_b32 s0, exec_lo
	v_cmpx_lt_i32_e64 v7, v8
	s_cbranch_execz .LBB25_283
.LBB25_287:
	v_sub_nc_u32_e32 v9, v7, v8
	s_delay_alu instid0(VALU_DEP_1) | instskip(NEXT) | instid1(VALU_DEP_1)
	v_lshl_add_u32 v9, v8, 5, v9
	v_ashrrev_i32_e32 v9, 5, v9
	s_delay_alu instid0(VALU_DEP_1) | instskip(SKIP_4) | instid1(VALU_DEP_1)
	v_lshl_add_u32 v10, v9, 2, s1
	ds_load_b32 v10, v10 offset:1024
	s_wait_dscnt 0x0
	v_cmp_lt_i32_e32 vcc_lo, v10, v5
	v_dual_cndmask_b32 v8, v9, v8 :: v_dual_add_nc_u32 v11, 1, v9
	v_cndmask_b32_e32 v7, v7, v11, vcc_lo
	s_or_b32 exec_lo, exec_lo, s0
	s_delay_alu instid0(SALU_CYCLE_1) | instskip(NEXT) | instid1(VALU_DEP_1)
	s_mov_b32 s0, exec_lo
	v_cmpx_lt_i32_e64 v7, v8
	s_cbranch_execz .LBB25_284
.LBB25_288:
	v_sub_nc_u32_e32 v9, v7, v8
	s_delay_alu instid0(VALU_DEP_1) | instskip(NEXT) | instid1(VALU_DEP_1)
	v_lshl_add_u32 v9, v8, 4, v9
	v_ashrrev_i32_e32 v9, 4, v9
	s_delay_alu instid0(VALU_DEP_1) | instskip(SKIP_4) | instid1(VALU_DEP_1)
	v_lshl_add_u32 v10, v9, 2, s1
	ds_load_b32 v10, v10 offset:1024
	s_wait_dscnt 0x0
	v_cmp_lt_i32_e32 vcc_lo, v10, v5
	v_dual_cndmask_b32 v8, v9, v8 :: v_dual_add_nc_u32 v11, 1, v9
	v_cndmask_b32_e32 v7, v7, v11, vcc_lo
	s_or_b32 exec_lo, exec_lo, s0
	s_delay_alu instid0(SALU_CYCLE_1) | instskip(NEXT) | instid1(VALU_DEP_1)
	s_mov_b32 s0, exec_lo
	v_cmpx_lt_i32_e64 v7, v8
	s_cbranch_execz .LBB25_292
.LBB25_289:
	s_mov_b32 s3, 0
.LBB25_290:                             ; =>This Inner Loop Header: Depth=1
	v_sub_nc_u32_e32 v9, v7, v8
	s_delay_alu instid0(VALU_DEP_1) | instskip(NEXT) | instid1(VALU_DEP_1)
	v_lshl_add_u32 v9, v8, 1, v9
	v_ashrrev_i32_e32 v9, 1, v9
	s_delay_alu instid0(VALU_DEP_1) | instskip(SKIP_4) | instid1(VALU_DEP_1)
	v_lshl_add_u32 v10, v9, 2, s1
	ds_load_b32 v10, v10 offset:1024
	s_wait_dscnt 0x0
	v_cmp_lt_i32_e32 vcc_lo, v10, v5
	v_dual_cndmask_b32 v8, v9, v8 :: v_dual_add_nc_u32 v11, 1, v9
	v_cndmask_b32_e32 v7, v7, v11, vcc_lo
	s_delay_alu instid0(VALU_DEP_1) | instskip(SKIP_1) | instid1(SALU_CYCLE_1)
	v_cmp_ge_i32_e32 vcc_lo, v7, v8
	s_or_b32 s3, vcc_lo, s3
	s_and_not1_b32 exec_lo, exec_lo, s3
	s_cbranch_execnz .LBB25_290
; %bb.291:
	s_or_b32 exec_lo, exec_lo, s3
.LBB25_292:
	s_delay_alu instid0(SALU_CYCLE_1) | instskip(SKIP_3) | instid1(VALU_DEP_1)
	s_or_b32 exec_lo, exec_lo, s0
	v_sub_nc_u32_e32 v1, v1, v3
	v_sub_nc_u32_e32 v9, v6, v7
	s_mov_b32 s0, exec_lo
	v_add_nc_u32_e32 v8, v9, v1
	s_delay_alu instid0(VALU_DEP_1) | instskip(NEXT) | instid1(VALU_DEP_1)
	v_ashrrev_i32_e32 v1, 1, v8
	v_max_i32_e32 v1, v1, v9
	s_delay_alu instid0(VALU_DEP_1) | instskip(NEXT) | instid1(VALU_DEP_1)
	v_add_nc_u32_e32 v7, v7, v1
	v_add_min_i32_e64 v7, v7, 1, v26
	s_delay_alu instid0(VALU_DEP_1) | instskip(NEXT) | instid1(VALU_DEP_1)
	v_dual_mov_b32 v6, 0 :: v_dual_sub_nc_u32 v7, v7, v6
	v_cmpx_lt_i32_e32 0, v7
	s_cbranch_execz .LBB25_296
; %bb.293:
	v_mov_b32_e32 v6, 0
	s_mov_b32 s3, 0
.LBB25_294:                             ; =>This Inner Loop Header: Depth=1
	s_delay_alu instid0(VALU_DEP_1) | instskip(NEXT) | instid1(VALU_DEP_1)
	v_add_nc_u32_e32 v10, v6, v7
	v_lshrrev_b32_e32 v10, 1, v10
	s_delay_alu instid0(VALU_DEP_1) | instskip(SKIP_4) | instid1(VALU_DEP_1)
	v_lshl_add_u32 v11, v10, 2, v4
	ds_load_b32 v11, v11 offset:1024
	s_wait_dscnt 0x0
	v_cmp_lt_i32_e32 vcc_lo, v5, v11
	v_dual_cndmask_b32 v7, v7, v10 :: v_dual_add_nc_u32 v12, 1, v10
	v_cndmask_b32_e32 v6, v12, v6, vcc_lo
	s_delay_alu instid0(VALU_DEP_1) | instskip(SKIP_1) | instid1(SALU_CYCLE_1)
	v_cmp_ge_i32_e32 vcc_lo, v6, v7
	s_or_b32 s3, vcc_lo, s3
	s_and_not1_b32 exec_lo, exec_lo, s3
	s_cbranch_execnz .LBB25_294
; %bb.295:
	s_or_b32 exec_lo, exec_lo, s3
.LBB25_296:
	s_delay_alu instid0(SALU_CYCLE_1) | instskip(NEXT) | instid1(VALU_DEP_2)
	s_or_b32 exec_lo, exec_lo, s0
	v_add_nc_u32_e32 v4, v6, v9
	s_wait_dscnt 0x0
	s_delay_alu instid0(VALU_DEP_1) | instskip(SKIP_1) | instid1(VALU_DEP_2)
	v_min_i32_e32 v5, v4, v1
	v_cmp_lt_i32_e32 vcc_lo, v1, v4
	v_dual_sub_nc_u32 v6, v8, v5 :: v_dual_add_nc_u32 v5, 1, v5
	s_delay_alu instid0(VALU_DEP_1) | instskip(NEXT) | instid1(VALU_DEP_2)
	v_add_nc_u32_e32 v1, v6, v3
	v_cmp_eq_u32_e64 s0, v6, v5
	s_and_b32 s0, vcc_lo, s0
	s_delay_alu instid0(SALU_CYCLE_1)
	v_cndmask_b32_e64 v4, 0, 1, s0
.LBB25_297:
	s_or_b32 exec_lo, exec_lo, s2
	s_lshl_b32 s0, s21, 16
	s_delay_alu instid0(SALU_CYCLE_1) | instskip(SKIP_2) | instid1(VALU_DEP_1)
	v_dual_lshlrev_b32 v8, 2, v1 :: v_dual_bitop2_b32 v3, s0, v26 bitop3:0x54
	v_sub_co_u32 v6, s0, v16, 1
	v_add_nc_u32_e32 v2, v4, v2
	v_sub_nc_u32_e32 v4, v2, v1
	s_delay_alu instid0(VALU_DEP_1) | instskip(NEXT) | instid1(VALU_DEP_1)
	v_lshl_or_b32 v5, v1, 16, v4
	v_cndmask_b32_e64 v3, v5, v3, s0
	v_cndmask_b32_e64 v5, v6, 0xff, s0
	s_delay_alu instid0(VALU_DEP_1)
	v_lshlrev_b32_e32 v6, 2, v5
	v_lshl_add_u32 v5, v4, 2, s1
	ds_store_b32 v6, v3
	s_wait_dscnt 0x0
	s_barrier_signal -1
	s_barrier_wait -1
	ds_load_b32 v0, v0
	ds_load_b32 v23, v8 offset:1024
	ds_load_b32 v6, v5 offset:1024
	s_wait_dscnt 0x2
	v_ashrrev_i32_e32 v3, 16, v0
	v_and_b32_e32 v7, 0xffff, v0
	s_wait_dscnt 0x0
	v_cmp_lt_i32_e32 vcc_lo, v6, v23
	v_mov_b32_e32 v24, v23
	v_cmp_le_i32_e64 s2, v3, v1
	v_cndmask_b32_e64 v0, 0, 1, vcc_lo
	v_cmp_le_i32_e32 vcc_lo, v7, v4
	s_delay_alu instid0(VALU_DEP_3)
	v_cndmask_b32_e64 v9, 0, 1, s2
	s_or_b32 s1, s2, vcc_lo
	s_delay_alu instid0(VALU_DEP_1) | instid1(SALU_CYCLE_1)
	v_cndmask_b32_e64 v0, v0, v9, s1
	s_delay_alu instid0(VALU_DEP_1) | instskip(NEXT) | instid1(VALU_DEP_1)
	v_and_b32_e32 v0, 1, v0
	v_cmp_eq_u32_e64 s3, 1, v0
	s_xor_b32 s4, s3, -1
	s_delay_alu instid0(SALU_CYCLE_1)
	s_and_saveexec_b32 s3, s4
; %bb.298:
	ds_load_b32 v24, v8 offset:1028
	v_add_nc_u32_e32 v1, 1, v1
; %bb.299:
	s_or_b32 exec_lo, exec_lo, s3
	s_xor_b32 s3, s2, -1
	v_cmp_lt_i32_e64 s2, v23, v6
	s_delay_alu instid0(VALU_DEP_1) | instskip(SKIP_1) | instid1(SALU_CYCLE_1)
	v_cndmask_b32_e64 v0, 0, 1, s2
	s_and_b32 s2, vcc_lo, s3
	v_cndmask_b32_e64 v8, 0, 1, s2
	s_delay_alu instid0(VALU_DEP_1) | instskip(NEXT) | instid1(VALU_DEP_1)
	v_cndmask_b32_e64 v0, v0, v8, s1
	v_and_b32_e32 v0, 1, v0
	s_delay_alu instid0(VALU_DEP_1) | instskip(SKIP_2) | instid1(SALU_CYCLE_1)
	v_cmp_eq_u32_e32 vcc_lo, 1, v0
	v_add_nc_u32_e32 v0, s21, v4
	s_xor_b32 s2, vcc_lo, -1
	s_and_saveexec_b32 s1, s2
; %bb.300:
	ds_load_b32 v6, v5 offset:1028
	v_add_nc_u32_e32 v0, 1, v0
; %bb.301:
	s_or_b32 exec_lo, exec_lo, s1
	v_cmp_ge_i32_e64 s1, v1, v3
	s_wait_dscnt 0x0
	v_cmp_lt_i32_e64 s3, v6, v24
	v_mov_b32_e32 v25, v24
	s_delay_alu instid0(VALU_DEP_3) | instskip(NEXT) | instid1(VALU_DEP_3)
	v_cndmask_b32_e64 v4, 0, 1, s1
	v_cndmask_b32_e64 v5, 0, 1, s3
	v_add_nc_u32_e32 v7, s21, v7
	s_delay_alu instid0(VALU_DEP_1) | instskip(SKIP_1) | instid1(SALU_CYCLE_1)
	v_cmp_ge_i32_e64 s2, v0, v7
	s_or_b32 s3, s1, s2
	v_cndmask_b32_e64 v4, v5, v4, s3
	s_delay_alu instid0(VALU_DEP_1) | instskip(NEXT) | instid1(VALU_DEP_1)
	v_and_b32_e32 v4, 1, v4
	v_cmp_eq_u32_e64 s3, 1, v4
	v_mov_b32_e32 v4, v1
	s_xor_b32 s4, s3, -1
	s_delay_alu instid0(SALU_CYCLE_1)
	s_and_saveexec_b32 s3, s4
; %bb.302:
	v_lshlrev_b32_e32 v4, 2, v1
	ds_load_b32 v25, v4 offset:1028
	v_add_nc_u32_e32 v4, 1, v1
; %bb.303:
	s_or_b32 exec_lo, exec_lo, s3
	v_cmp_lt_i32_e64 s3, v24, v6
	s_xor_b32 s1, s1, -1
	v_mov_b32_e32 v5, v0
	s_or_b32 s2, s2, s3
	s_delay_alu instid0(SALU_CYCLE_1) | instskip(NEXT) | instid1(SALU_CYCLE_1)
	s_and_b32 s15, s1, s2
	s_xor_b32 s2, s15, -1
	s_delay_alu instid0(SALU_CYCLE_1)
	s_and_saveexec_b32 s1, s2
; %bb.304:
	v_lshlrev_b32_e32 v5, 2, v0
	ds_load_b32 v6, v5 offset:1028
	v_add_nc_u32_e32 v5, 1, v0
; %bb.305:
	s_or_b32 exec_lo, exec_lo, s1
	v_cmp_ge_i32_e64 s1, v4, v3
	s_wait_dscnt 0x0
	v_cmp_lt_i32_e64 s3, v6, v25
	v_cmp_ge_i32_e64 s2, v5, v7
	v_mov_b32_e32 v26, v25
	v_cndmask_b32_e64 v8, 0, 1, s1
	s_delay_alu instid0(VALU_DEP_4)
	v_cndmask_b32_e64 v9, 0, 1, s3
	s_or_b32 s3, s1, s2
	s_delay_alu instid0(VALU_DEP_1) | instid1(SALU_CYCLE_1)
	v_cndmask_b32_e64 v8, v9, v8, s3
	s_delay_alu instid0(VALU_DEP_1) | instskip(NEXT) | instid1(VALU_DEP_1)
	v_and_b32_e32 v8, 1, v8
	v_cmp_eq_u32_e64 s3, 1, v8
	v_mov_b32_e32 v8, v4
	s_xor_b32 s4, s3, -1
	s_delay_alu instid0(SALU_CYCLE_1)
	s_and_saveexec_b32 s3, s4
; %bb.306:
	v_lshlrev_b32_e32 v8, 2, v4
	ds_load_b32 v26, v8 offset:1028
	v_add_nc_u32_e32 v8, 1, v4
; %bb.307:
	s_or_b32 exec_lo, exec_lo, s3
	v_cmp_lt_i32_e64 s3, v25, v6
	s_xor_b32 s1, s1, -1
	v_mov_b32_e32 v9, v5
	s_or_b32 s2, s2, s3
	s_delay_alu instid0(SALU_CYCLE_1) | instskip(NEXT) | instid1(SALU_CYCLE_1)
	s_and_b32 s14, s1, s2
	s_xor_b32 s2, s14, -1
	s_delay_alu instid0(SALU_CYCLE_1)
	s_and_saveexec_b32 s1, s2
; %bb.308:
	v_dual_lshlrev_b32 v6, 2, v5 :: v_dual_add_nc_u32 v9, 1, v5
	ds_load_b32 v6, v6 offset:1028
; %bb.309:
	s_or_b32 exec_lo, exec_lo, s1
	v_cmp_ge_i32_e64 s1, v8, v3
	s_wait_dscnt 0x0
	v_cmp_lt_i32_e64 s3, v6, v26
	v_cmp_ge_i32_e64 s2, v9, v7
	v_mov_b32_e32 v27, v26
	v_cndmask_b32_e64 v10, 0, 1, s1
	s_delay_alu instid0(VALU_DEP_4)
	v_cndmask_b32_e64 v11, 0, 1, s3
	s_or_b32 s3, s1, s2
	s_delay_alu instid0(VALU_DEP_1) | instid1(SALU_CYCLE_1)
	v_cndmask_b32_e64 v10, v11, v10, s3
	s_delay_alu instid0(VALU_DEP_1) | instskip(NEXT) | instid1(VALU_DEP_1)
	v_and_b32_e32 v10, 1, v10
	v_cmp_eq_u32_e64 s3, 1, v10
	v_mov_b32_e32 v10, v8
	s_xor_b32 s4, s3, -1
	s_delay_alu instid0(SALU_CYCLE_1)
	s_and_saveexec_b32 s3, s4
; %bb.310:
	v_lshlrev_b32_e32 v10, 2, v8
	ds_load_b32 v27, v10 offset:1028
	v_add_nc_u32_e32 v10, 1, v8
; %bb.311:
	s_or_b32 exec_lo, exec_lo, s3
	v_cmp_lt_i32_e64 s3, v26, v6
	s_xor_b32 s1, s1, -1
	v_mov_b32_e32 v11, v9
	s_or_b32 s2, s2, s3
	s_delay_alu instid0(SALU_CYCLE_1) | instskip(NEXT) | instid1(SALU_CYCLE_1)
	s_and_b32 s22, s1, s2
	s_xor_b32 s2, s22, -1
	s_delay_alu instid0(SALU_CYCLE_1)
	s_and_saveexec_b32 s1, s2
; %bb.312:
	v_dual_lshlrev_b32 v6, 2, v9 :: v_dual_add_nc_u32 v11, 1, v9
	ds_load_b32 v6, v6 offset:1028
	;; [unrolled: 38-line block ×6, first 2 shown]
; %bb.329:
	s_or_b32 exec_lo, exec_lo, s1
	v_cmp_ge_i32_e64 s1, v20, v3
	s_wait_dscnt 0x0
	v_cmp_lt_i32_e64 s3, v6, v31
	v_cmp_ge_i32_e64 s2, v21, v7
	v_mov_b32_e32 v39, v20
	v_cndmask_b32_e64 v32, 0, 1, s1
	s_delay_alu instid0(VALU_DEP_4)
	v_cndmask_b32_e64 v33, 0, 1, s3
	s_or_b32 s3, s1, s2
	s_delay_alu instid0(VALU_DEP_1) | instid1(SALU_CYCLE_1)
	v_cndmask_b32_e64 v32, v33, v32, s3
	s_delay_alu instid0(VALU_DEP_1) | instskip(NEXT) | instid1(VALU_DEP_1)
	v_and_b32_e32 v32, 1, v32
	v_cmp_eq_u32_e64 s3, 1, v32
	v_mov_b32_e32 v32, v31
	s_xor_b32 s4, s3, -1
	s_delay_alu instid0(SALU_CYCLE_1)
	s_and_saveexec_b32 s3, s4
; %bb.330:
	v_dual_lshlrev_b32 v32, 2, v20 :: v_dual_add_nc_u32 v39, 1, v20
	ds_load_b32 v32, v32 offset:1028
; %bb.331:
	s_or_b32 exec_lo, exec_lo, s3
	v_cmp_lt_i32_e64 s3, v31, v6
	s_xor_b32 s1, s1, -1
	v_mov_b32_e32 v40, v21
	s_or_b32 s2, s2, s3
	s_delay_alu instid0(SALU_CYCLE_1) | instskip(NEXT) | instid1(SALU_CYCLE_1)
	s_and_b32 s27, s1, s2
	s_xor_b32 s2, s27, -1
	s_delay_alu instid0(SALU_CYCLE_1)
	s_and_saveexec_b32 s1, s2
; %bb.332:
	v_dual_lshlrev_b32 v6, 2, v21 :: v_dual_add_nc_u32 v40, 1, v21
	ds_load_b32 v6, v6 offset:1028
; %bb.333:
	s_or_b32 exec_lo, exec_lo, s1
	v_cmp_ge_i32_e64 s1, v39, v3
	s_wait_dscnt 0x0
	v_cmp_lt_i32_e64 s3, v6, v32
	v_cmp_ge_i32_e64 s2, v40, v7
	v_mov_b32_e32 v41, v39
	v_cndmask_b32_e64 v33, 0, 1, s1
	s_delay_alu instid0(VALU_DEP_4)
	v_cndmask_b32_e64 v34, 0, 1, s3
	s_or_b32 s3, s1, s2
	s_delay_alu instid0(VALU_DEP_1) | instid1(SALU_CYCLE_1)
	v_cndmask_b32_e64 v33, v34, v33, s3
	s_delay_alu instid0(VALU_DEP_1) | instskip(NEXT) | instid1(VALU_DEP_1)
	v_and_b32_e32 v33, 1, v33
	v_cmp_eq_u32_e64 s3, 1, v33
	v_mov_b32_e32 v33, v32
	s_xor_b32 s4, s3, -1
	s_delay_alu instid0(SALU_CYCLE_1)
	s_and_saveexec_b32 s3, s4
; %bb.334:
	v_dual_lshlrev_b32 v33, 2, v39 :: v_dual_add_nc_u32 v41, 1, v39
	ds_load_b32 v33, v33 offset:1028
; %bb.335:
	s_or_b32 exec_lo, exec_lo, s3
	v_cmp_lt_i32_e64 s3, v32, v6
	s_xor_b32 s1, s1, -1
	v_mov_b32_e32 v42, v40
	s_or_b32 s2, s2, s3
	s_delay_alu instid0(SALU_CYCLE_1) | instskip(NEXT) | instid1(SALU_CYCLE_1)
	s_and_b32 s28, s1, s2
	s_xor_b32 s2, s28, -1
	s_delay_alu instid0(SALU_CYCLE_1)
	s_and_saveexec_b32 s1, s2
; %bb.336:
	v_dual_lshlrev_b32 v6, 2, v40 :: v_dual_add_nc_u32 v42, 1, v40
	ds_load_b32 v6, v6 offset:1028
; %bb.337:
	s_or_b32 exec_lo, exec_lo, s1
	v_cmp_ge_i32_e64 s1, v41, v3
	s_wait_dscnt 0x0
	v_cmp_lt_i32_e64 s3, v6, v33
	v_cmp_ge_i32_e64 s2, v42, v7
	v_mov_b32_e32 v43, v41
	v_cndmask_b32_e64 v34, 0, 1, s1
	s_delay_alu instid0(VALU_DEP_4)
	v_cndmask_b32_e64 v35, 0, 1, s3
	s_or_b32 s3, s1, s2
	s_delay_alu instid0(VALU_DEP_1) | instid1(SALU_CYCLE_1)
	v_cndmask_b32_e64 v34, v35, v34, s3
	s_delay_alu instid0(VALU_DEP_1) | instskip(NEXT) | instid1(VALU_DEP_1)
	v_and_b32_e32 v34, 1, v34
	v_cmp_eq_u32_e64 s3, 1, v34
	v_mov_b32_e32 v34, v33
	s_xor_b32 s4, s3, -1
	s_delay_alu instid0(SALU_CYCLE_1)
	s_and_saveexec_b32 s3, s4
; %bb.338:
	v_dual_lshlrev_b32 v34, 2, v41 :: v_dual_add_nc_u32 v43, 1, v41
	ds_load_b32 v34, v34 offset:1028
; %bb.339:
	s_or_b32 exec_lo, exec_lo, s3
	v_cmp_lt_i32_e64 s3, v33, v6
	s_xor_b32 s1, s1, -1
	v_mov_b32_e32 v44, v42
	s_or_b32 s2, s2, s3
	s_delay_alu instid0(SALU_CYCLE_1) | instskip(NEXT) | instid1(SALU_CYCLE_1)
	s_and_b32 s29, s1, s2
	s_xor_b32 s2, s29, -1
	s_delay_alu instid0(SALU_CYCLE_1)
	s_and_saveexec_b32 s1, s2
; %bb.340:
	v_dual_lshlrev_b32 v6, 2, v42 :: v_dual_add_nc_u32 v44, 1, v42
	ds_load_b32 v6, v6 offset:1028
; %bb.341:
	s_or_b32 exec_lo, exec_lo, s1
	v_cmp_ge_i32_e64 s1, v43, v3
	s_wait_dscnt 0x0
	v_cmp_lt_i32_e64 s3, v6, v34
	v_cmp_ge_i32_e64 s2, v44, v7
	v_mov_b32_e32 v45, v43
	v_cndmask_b32_e64 v35, 0, 1, s1
	s_delay_alu instid0(VALU_DEP_4)
	v_cndmask_b32_e64 v36, 0, 1, s3
	s_or_b32 s3, s1, s2
	s_delay_alu instid0(VALU_DEP_1) | instid1(SALU_CYCLE_1)
	v_cndmask_b32_e64 v35, v36, v35, s3
	s_delay_alu instid0(VALU_DEP_1) | instskip(NEXT) | instid1(VALU_DEP_1)
	v_and_b32_e32 v35, 1, v35
	v_cmp_eq_u32_e64 s3, 1, v35
	v_mov_b32_e32 v35, v34
	s_xor_b32 s4, s3, -1
	s_delay_alu instid0(SALU_CYCLE_1)
	s_and_saveexec_b32 s3, s4
; %bb.342:
	v_dual_lshlrev_b32 v35, 2, v43 :: v_dual_add_nc_u32 v45, 1, v43
	ds_load_b32 v35, v35 offset:1028
; %bb.343:
	s_or_b32 exec_lo, exec_lo, s3
	v_cmp_lt_i32_e64 s3, v34, v6
	s_xor_b32 s1, s1, -1
	v_mov_b32_e32 v46, v44
	s_or_b32 s2, s2, s3
	s_delay_alu instid0(SALU_CYCLE_1) | instskip(NEXT) | instid1(SALU_CYCLE_1)
	s_and_b32 s30, s1, s2
	s_xor_b32 s2, s30, -1
	s_delay_alu instid0(SALU_CYCLE_1)
	s_and_saveexec_b32 s1, s2
; %bb.344:
	v_dual_lshlrev_b32 v6, 2, v44 :: v_dual_add_nc_u32 v46, 1, v44
	ds_load_b32 v6, v6 offset:1028
; %bb.345:
	s_or_b32 exec_lo, exec_lo, s1
	v_cmp_ge_i32_e64 s1, v45, v3
	s_wait_dscnt 0x0
	v_cmp_lt_i32_e64 s3, v6, v35
	v_cmp_ge_i32_e64 s2, v46, v7
	v_mov_b32_e32 v47, v45
	v_cndmask_b32_e64 v36, 0, 1, s1
	s_delay_alu instid0(VALU_DEP_4)
	v_cndmask_b32_e64 v37, 0, 1, s3
	s_or_b32 s3, s1, s2
	s_delay_alu instid0(VALU_DEP_1) | instid1(SALU_CYCLE_1)
	v_cndmask_b32_e64 v36, v37, v36, s3
	s_delay_alu instid0(VALU_DEP_1) | instskip(NEXT) | instid1(VALU_DEP_1)
	v_and_b32_e32 v36, 1, v36
	v_cmp_eq_u32_e64 s3, 1, v36
	v_mov_b32_e32 v36, v35
	s_xor_b32 s4, s3, -1
	s_delay_alu instid0(SALU_CYCLE_1)
	s_and_saveexec_b32 s3, s4
; %bb.346:
	v_dual_lshlrev_b32 v36, 2, v45 :: v_dual_add_nc_u32 v47, 1, v45
	ds_load_b32 v36, v36 offset:1028
; %bb.347:
	s_or_b32 exec_lo, exec_lo, s3
	v_cmp_lt_i32_e64 s3, v35, v6
	s_xor_b32 s1, s1, -1
	v_mov_b32_e32 v48, v46
	s_or_b32 s2, s2, s3
	s_delay_alu instid0(SALU_CYCLE_1) | instskip(NEXT) | instid1(SALU_CYCLE_1)
	s_and_b32 s31, s1, s2
	s_xor_b32 s2, s31, -1
	s_delay_alu instid0(SALU_CYCLE_1)
	s_and_saveexec_b32 s1, s2
; %bb.348:
	v_dual_lshlrev_b32 v6, 2, v46 :: v_dual_add_nc_u32 v48, 1, v46
	ds_load_b32 v6, v6 offset:1028
; %bb.349:
	s_or_b32 exec_lo, exec_lo, s1
	v_cmp_ge_i32_e64 s1, v47, v3
	s_wait_dscnt 0x0
	v_cmp_lt_i32_e64 s3, v6, v36
	v_cmp_ge_i32_e64 s2, v48, v7
	v_mov_b32_e32 v49, v47
	v_cndmask_b32_e64 v37, 0, 1, s1
	s_delay_alu instid0(VALU_DEP_4)
	v_cndmask_b32_e64 v38, 0, 1, s3
	s_or_b32 s3, s1, s2
	s_delay_alu instid0(VALU_DEP_1) | instid1(SALU_CYCLE_1)
	v_cndmask_b32_e64 v37, v38, v37, s3
	s_delay_alu instid0(VALU_DEP_1) | instskip(NEXT) | instid1(VALU_DEP_1)
	v_and_b32_e32 v37, 1, v37
	v_cmp_eq_u32_e64 s3, 1, v37
	v_mov_b32_e32 v37, v36
	s_xor_b32 s4, s3, -1
	s_delay_alu instid0(SALU_CYCLE_1)
	s_and_saveexec_b32 s3, s4
; %bb.350:
	v_dual_lshlrev_b32 v37, 2, v47 :: v_dual_add_nc_u32 v49, 1, v47
	ds_load_b32 v37, v37 offset:1028
; %bb.351:
	s_or_b32 exec_lo, exec_lo, s3
	v_cmp_lt_i32_e64 s3, v36, v6
	s_xor_b32 s1, s1, -1
	v_mov_b32_e32 v50, v48
	s_or_b32 s2, s2, s3
	s_delay_alu instid0(SALU_CYCLE_1) | instskip(NEXT) | instid1(SALU_CYCLE_1)
	s_and_b32 s33, s1, s2
	s_xor_b32 s2, s33, -1
	s_delay_alu instid0(SALU_CYCLE_1)
	s_and_saveexec_b32 s1, s2
; %bb.352:
	v_dual_lshlrev_b32 v6, 2, v48 :: v_dual_add_nc_u32 v50, 1, v48
	ds_load_b32 v6, v6 offset:1028
; %bb.353:
	s_or_b32 exec_lo, exec_lo, s1
	v_cmp_ge_i32_e64 s1, v49, v3
	s_wait_dscnt 0x0
	v_cmp_lt_i32_e64 s3, v6, v37
	v_cmp_ge_i32_e64 s2, v50, v7
	s_delay_alu instid0(VALU_DEP_3) | instskip(NEXT) | instid1(VALU_DEP_3)
	v_cndmask_b32_e64 v38, 0, 1, s1
	v_cndmask_b32_e64 v51, 0, 1, s3
	s_or_b32 s3, s1, s2
	s_delay_alu instid0(VALU_DEP_1) | instid1(SALU_CYCLE_1)
	v_dual_cndmask_b32 v38, v51, v38, s3 :: v_dual_mov_b32 v51, v49
	s_delay_alu instid0(VALU_DEP_1) | instskip(NEXT) | instid1(VALU_DEP_1)
	v_and_b32_e32 v38, 1, v38
	v_cmp_eq_u32_e64 s3, 1, v38
	v_mov_b32_e32 v38, v37
	s_xor_b32 s4, s3, -1
	s_delay_alu instid0(SALU_CYCLE_1)
	s_and_saveexec_b32 s3, s4
; %bb.354:
	v_dual_lshlrev_b32 v38, 2, v49 :: v_dual_add_nc_u32 v51, 1, v49
	ds_load_b32 v38, v38 offset:1028
; %bb.355:
	s_or_b32 exec_lo, exec_lo, s3
	v_cmp_lt_i32_e64 s3, v37, v6
	s_xor_b32 s1, s1, -1
	v_mov_b32_e32 v52, v50
	s_or_b32 s2, s2, s3
	s_delay_alu instid0(SALU_CYCLE_1) | instskip(NEXT) | instid1(SALU_CYCLE_1)
	s_and_b32 s34, s1, s2
	s_xor_b32 s2, s34, -1
	s_delay_alu instid0(SALU_CYCLE_1)
	s_and_saveexec_b32 s1, s2
; %bb.356:
	v_dual_lshlrev_b32 v6, 2, v50 :: v_dual_add_nc_u32 v52, 1, v50
	ds_load_b32 v6, v6 offset:1028
; %bb.357:
	s_or_b32 exec_lo, exec_lo, s1
	v_add_nc_u32_e32 v53, v52, v51
	v_add_nc_u32_e32 v54, v7, v3
	v_cmp_lt_i32_e64 s1, v51, v3
	v_cmp_ge_i32_e64 s2, v52, v7
	v_add_nc_u32_e32 v3, v50, v49
	v_add_nc_u32_e32 v7, v46, v45
	v_cmp_lt_i32_e64 s4, v53, v54
	v_add_nc_u32_e32 v43, v44, v43
	v_dual_add_nc_u32 v0, v0, v1 :: v_dual_add_nc_u32 v1, v9, v8
	v_add_nc_u32_e32 v2, s21, v2
	s_and_b32 s36, s1, s4
	v_cmp_lt_i32_e64 s1, v3, v54
	v_add_nc_u32_e32 v3, v19, v18
	s_wait_dscnt 0x0
	v_cmp_lt_i32_e64 s3, v38, v6
	v_dual_add_nc_u32 v6, v48, v47 :: v_dual_add_nc_u32 v41, v42, v41
	v_cmp_lt_i32_e64 s11, v0, v54
	v_cmp_lt_i32_e64 s6, v3, v54
	v_dual_add_nc_u32 v3, v5, v4 :: v_dual_add_nc_u32 v4, v11, v10
	v_cmp_lt_i32_e64 s13, v2, v54
	s_or_b32 s35, s2, s3
	v_cmp_lt_i32_e64 s2, v6, v54
	v_cmp_lt_i32_e64 s9, v3, v54
	;; [unrolled: 1-line block ×3, first 2 shown]
	v_dual_add_nc_u32 v6, v15, v14 :: v_dual_add_nc_u32 v7, v13, v12
	v_cmp_lt_i32_e64 s10, v4, v54
	v_cmp_lt_i32_e64 s12, v1, v54
	s_and_b32 s14, s9, s14
	s_and_b32 s11, s11, s15
	s_and_b32 s13, s13, vcc_lo
	v_cndmask_b32_e64 v0, 0, 4, s14
	v_cndmask_b32_e64 v1, 0, 2, s11
	v_cndmask_b32_e64 v2, 0, 1, s13
	v_cmp_lt_i32_e64 s7, v6, v54
	v_cmp_lt_i32_e64 s8, v7, v54
	s_and_b32 s9, s10, s23
	s_and_b32 s10, s12, s22
	v_cndmask_b32_e64 v3, 0, 16, s9
	v_cndmask_b32_e64 v4, 0, 8, s10
	v_or3_b32 v0, v1, v2, v0
	v_dual_add_nc_u32 v12, v40, v39 :: v_dual_add_nc_u32 v13, v21, v20
	s_and_b32 s7, s7, s25
	s_and_b32 s8, s8, s24
	v_cndmask_b32_e64 v1, 0, 64, s7
	v_cndmask_b32_e64 v2, 0, 32, s8
	v_or3_b32 v0, v0, v4, v3
	v_cmp_lt_i32_e32 vcc_lo, v12, v54
	v_cmp_lt_i32_e64 s7, v13, v54
	s_and_b32 s6, s6, s26
	v_cmp_lt_i32_e64 s4, v43, v54
	v_cndmask_b32_e64 v3, 0, 0x80, s6
	v_or3_b32 v44, v0, v2, v1
	s_and_b32 s6, vcc_lo, s28
	v_cmp_lt_i32_e64 s5, v41, v54
	v_cndmask_b32_e64 v0, 0, 0x200, s6
	s_and_b32 s6, s7, s27
	v_or_b32_e32 v43, v3, v44
	v_cndmask_b32_e64 v1, 0, 0x100, s6
	s_and_b32 s4, s4, s30
	s_and_b32 s2, s2, s33
	v_cndmask_b32_e64 v2, 0, 0x800, s4
	s_and_b32 s4, s5, s29
	v_or3_b32 v42, v1, v0, v43
	v_cndmask_b32_e64 v3, 0, 0x400, s4
	v_cndmask_b32_e64 v0, 0, 0x2000, s2
	s_and_b32 s2, s3, s31
	s_and_b32 s1, s1, s34
	v_cndmask_b32_e64 v1, 0, 0x1000, s2
	v_or3_b32 v41, v3, v2, v42
	s_and_b32 s2, s36, s35
	v_cndmask_b32_e64 v3, 0, 0x4000, s1
	v_cndmask_b32_e64 v2, 0, 0x8000, s2
	v_mov_b32_e32 v9, 0
	v_or3_b32 v40, v1, v0, v41
	v_mbcnt_lo_u32_b32 v45, -1, 0
	s_cmp_lg_u32 s20, 0
	s_barrier_signal -1
	s_delay_alu instid0(VALU_DEP_2) | instskip(SKIP_1) | instid1(VALU_DEP_1)
	v_or3_b32 v39, v3, v2, v40
	s_barrier_wait -1
	v_bcnt_u32_b32 v8, v39, 0
	s_cbranch_scc0 .LBB25_414
; %bb.358:
	s_delay_alu instid0(VALU_DEP_1)
	v_mov_b64_e32 v[2:3], v[8:9]
	v_dual_mov_b32 v0, v8 :: v_dual_bitop2_b32 v10, 15, v45 bitop3:0x40
	v_mov_b32_dpp v4, v8 row_shr:1 row_mask:0xf bank_mask:0xf
	v_mov_b32_dpp v7, v9 row_shr:1 row_mask:0xf bank_mask:0xf
	v_mov_b32_e32 v5, v9
	s_mov_b32 s1, exec_lo
	v_cmpx_ne_u32_e32 0, v10
; %bb.359:
	v_mov_b32_e32 v6, 0
	s_delay_alu instid0(VALU_DEP_1) | instskip(NEXT) | instid1(VALU_DEP_1)
	v_mov_b32_e32 v5, v6
	v_add_nc_u64_e32 v[0:1], v[4:5], v[8:9]
	s_delay_alu instid0(VALU_DEP_1) | instskip(NEXT) | instid1(VALU_DEP_1)
	v_add_nc_u64_e32 v[4:5], v[6:7], v[0:1]
	v_mov_b64_e32 v[2:3], v[4:5]
; %bb.360:
	s_or_b32 exec_lo, exec_lo, s1
	v_mov_b32_dpp v4, v0 row_shr:2 row_mask:0xf bank_mask:0xf
	v_mov_b32_dpp v7, v5 row_shr:2 row_mask:0xf bank_mask:0xf
	s_mov_b32 s1, exec_lo
	v_cmpx_lt_u32_e32 1, v10
; %bb.361:
	v_mov_b32_e32 v6, 0
	s_delay_alu instid0(VALU_DEP_1) | instskip(NEXT) | instid1(VALU_DEP_1)
	v_mov_b32_e32 v5, v6
	v_add_nc_u64_e32 v[0:1], v[2:3], v[4:5]
	s_delay_alu instid0(VALU_DEP_1) | instskip(NEXT) | instid1(VALU_DEP_1)
	v_add_nc_u64_e32 v[4:5], v[6:7], v[0:1]
	v_mov_b64_e32 v[2:3], v[4:5]
; %bb.362:
	s_or_b32 exec_lo, exec_lo, s1
	v_mov_b32_dpp v4, v0 row_shr:4 row_mask:0xf bank_mask:0xf
	v_mov_b32_dpp v7, v5 row_shr:4 row_mask:0xf bank_mask:0xf
	s_mov_b32 s1, exec_lo
	v_cmpx_lt_u32_e32 3, v10
	;; [unrolled: 14-line block ×3, first 2 shown]
; %bb.365:
	v_mov_b32_e32 v6, 0
	s_delay_alu instid0(VALU_DEP_1) | instskip(NEXT) | instid1(VALU_DEP_1)
	v_mov_b32_e32 v5, v6
	v_add_nc_u64_e32 v[0:1], v[2:3], v[4:5]
	s_delay_alu instid0(VALU_DEP_1) | instskip(NEXT) | instid1(VALU_DEP_1)
	v_add_nc_u64_e32 v[2:3], v[6:7], v[0:1]
	v_mov_b32_e32 v5, v3
; %bb.366:
	s_or_b32 exec_lo, exec_lo, s1
	ds_swizzle_b32 v4, v0 offset:swizzle(BROADCAST,32,15)
	ds_swizzle_b32 v7, v5 offset:swizzle(BROADCAST,32,15)
	v_and_b32_e32 v1, 16, v45
	s_mov_b32 s1, exec_lo
	s_delay_alu instid0(VALU_DEP_1)
	v_cmpx_ne_u32_e32 0, v1
	s_cbranch_execz .LBB25_368
; %bb.367:
	v_mov_b32_e32 v6, 0
	s_delay_alu instid0(VALU_DEP_1) | instskip(SKIP_1) | instid1(VALU_DEP_1)
	v_mov_b32_e32 v5, v6
	s_wait_dscnt 0x1
	v_add_nc_u64_e32 v[0:1], v[2:3], v[4:5]
	s_wait_dscnt 0x0
	s_delay_alu instid0(VALU_DEP_1)
	v_add_nc_u64_e32 v[2:3], v[6:7], v[0:1]
.LBB25_368:
	s_or_b32 exec_lo, exec_lo, s1
	v_and_b32_e32 v1, 0x3e0, v16
	s_mov_b32 s1, exec_lo
	s_delay_alu instid0(VALU_DEP_1) | instskip(SKIP_1) | instid1(VALU_DEP_1)
	v_min_u32_e32 v1, 0xe0, v1
	s_wait_dscnt 0x1
	v_dual_lshrrev_b32 v1, 5, v16 :: v_dual_bitop2_b32 v4, 31, v1 bitop3:0x54
	s_delay_alu instid0(VALU_DEP_1)
	v_cmpx_eq_u32_e64 v16, v4
; %bb.369:
	s_delay_alu instid0(VALU_DEP_2)
	v_lshlrev_b32_e32 v4, 3, v1
	ds_store_b64 v4, v[2:3]
; %bb.370:
	s_or_b32 exec_lo, exec_lo, s1
	s_delay_alu instid0(SALU_CYCLE_1)
	s_mov_b32 s1, exec_lo
	s_wait_dscnt 0x0
	s_barrier_signal -1
	s_barrier_wait -1
	v_cmpx_gt_u32_e32 8, v16
	s_cbranch_execz .LBB25_378
; %bb.371:
	v_dual_lshlrev_b32 v12, 3, v16 :: v_dual_bitop2_b32 v13, 7, v45 bitop3:0x40
	s_mov_b32 s2, exec_lo
	ds_load_b64 v[2:3], v12
	s_wait_dscnt 0x0
	v_mov_b32_dpp v6, v2 row_shr:1 row_mask:0xf bank_mask:0xf
	v_mov_b32_dpp v11, v3 row_shr:1 row_mask:0xf bank_mask:0xf
	v_mov_b32_e32 v4, v2
	v_cmpx_ne_u32_e32 0, v13
; %bb.372:
	v_mov_b32_e32 v10, 0
	s_delay_alu instid0(VALU_DEP_1) | instskip(NEXT) | instid1(VALU_DEP_1)
	v_mov_b32_e32 v7, v10
	v_add_nc_u64_e32 v[4:5], v[2:3], v[6:7]
	s_delay_alu instid0(VALU_DEP_1)
	v_add_nc_u64_e32 v[2:3], v[10:11], v[4:5]
; %bb.373:
	s_or_b32 exec_lo, exec_lo, s2
	v_mov_b32_dpp v6, v4 row_shr:2 row_mask:0xf bank_mask:0xf
	s_delay_alu instid0(VALU_DEP_2)
	v_mov_b32_dpp v11, v3 row_shr:2 row_mask:0xf bank_mask:0xf
	s_mov_b32 s2, exec_lo
	v_cmpx_lt_u32_e32 1, v13
; %bb.374:
	v_mov_b32_e32 v10, 0
	s_delay_alu instid0(VALU_DEP_1) | instskip(NEXT) | instid1(VALU_DEP_1)
	v_mov_b32_e32 v7, v10
	v_add_nc_u64_e32 v[4:5], v[2:3], v[6:7]
	s_delay_alu instid0(VALU_DEP_1)
	v_add_nc_u64_e32 v[2:3], v[10:11], v[4:5]
; %bb.375:
	s_or_b32 exec_lo, exec_lo, s2
	v_mov_b32_dpp v4, v4 row_shr:4 row_mask:0xf bank_mask:0xf
	s_delay_alu instid0(VALU_DEP_2)
	v_mov_b32_dpp v7, v3 row_shr:4 row_mask:0xf bank_mask:0xf
	s_mov_b32 s2, exec_lo
	v_cmpx_lt_u32_e32 3, v13
; %bb.376:
	v_mov_b32_e32 v6, 0
	s_delay_alu instid0(VALU_DEP_1) | instskip(NEXT) | instid1(VALU_DEP_1)
	v_mov_b32_e32 v5, v6
	v_add_nc_u64_e32 v[2:3], v[2:3], v[4:5]
	s_delay_alu instid0(VALU_DEP_1)
	v_add_nc_u64_e32 v[2:3], v[2:3], v[6:7]
; %bb.377:
	s_or_b32 exec_lo, exec_lo, s2
	ds_store_b64 v12, v[2:3]
.LBB25_378:
	s_or_b32 exec_lo, exec_lo, s1
	s_delay_alu instid0(SALU_CYCLE_1)
	s_mov_b32 s2, exec_lo
	v_cmp_gt_u32_e32 vcc_lo, 32, v16
	s_wait_dscnt 0x0
	s_barrier_signal -1
	s_barrier_wait -1
                                        ; implicit-def: $vgpr10_vgpr11
	v_cmpx_lt_u32_e32 31, v16
	s_cbranch_execz .LBB25_380
; %bb.379:
	v_lshl_add_u32 v1, v1, 3, -8
	ds_load_b64 v[10:11], v1
	s_wait_dscnt 0x0
	v_add_nc_u32_e32 v0, v0, v10
.LBB25_380:
	s_or_b32 exec_lo, exec_lo, s2
	v_sub_co_u32 v1, s1, v45, 1
	s_delay_alu instid0(VALU_DEP_1) | instskip(NEXT) | instid1(VALU_DEP_1)
	v_cmp_gt_i32_e64 s2, 0, v1
	v_cndmask_b32_e64 v1, v1, v45, s2
	s_delay_alu instid0(VALU_DEP_1)
	v_lshlrev_b32_e32 v1, 2, v1
	ds_bpermute_b32 v46, v1, v0
	s_and_saveexec_b32 s2, vcc_lo
	s_cbranch_execz .LBB25_419
; %bb.381:
	v_mov_b32_e32 v3, 0
	ds_load_b64 v[0:1], v3 offset:56
	s_and_saveexec_b32 s3, s1
	s_cbranch_execz .LBB25_383
; %bb.382:
	s_add_co_i32 s4, s20, 32
	s_mov_b32 s5, 0
	v_mov_b32_e32 v2, 1
	s_lshl_b64 s[4:5], s[4:5], 4
	s_delay_alu instid0(SALU_CYCLE_1) | instskip(NEXT) | instid1(SALU_CYCLE_1)
	s_add_nc_u64 s[4:5], s[16:17], s[4:5]
	v_mov_b64_e32 v[4:5], s[4:5]
	s_wait_dscnt 0x0
	;;#ASMSTART
	global_store_b128 v[4:5], v[0:3] off scope:SCOPE_DEV	
s_wait_storecnt 0x0
	;;#ASMEND
.LBB25_383:
	s_or_b32 exec_lo, exec_lo, s3
	v_xad_u32 v12, v45, -1, s20
	s_mov_b32 s4, 0
	s_mov_b32 s3, exec_lo
	s_delay_alu instid0(VALU_DEP_1) | instskip(NEXT) | instid1(VALU_DEP_1)
	v_add_nc_u32_e32 v2, 32, v12
	v_lshl_add_u64 v[2:3], v[2:3], 4, s[16:17]
	;;#ASMSTART
	global_load_b128 v[4:7], v[2:3] off scope:SCOPE_DEV	
s_wait_loadcnt 0x0
	;;#ASMEND
	v_and_b32_e32 v7, 0xff, v6
	s_delay_alu instid0(VALU_DEP_1)
	v_cmpx_eq_u16_e32 0, v7
	s_cbranch_execz .LBB25_386
.LBB25_384:                             ; =>This Inner Loop Header: Depth=1
	;;#ASMSTART
	global_load_b128 v[4:7], v[2:3] off scope:SCOPE_DEV	
s_wait_loadcnt 0x0
	;;#ASMEND
	v_and_b32_e32 v7, 0xff, v6
	s_delay_alu instid0(VALU_DEP_1) | instskip(SKIP_1) | instid1(SALU_CYCLE_1)
	v_cmp_ne_u16_e32 vcc_lo, 0, v7
	s_or_b32 s4, vcc_lo, s4
	s_and_not1_b32 exec_lo, exec_lo, s4
	s_cbranch_execnz .LBB25_384
; %bb.385:
	s_or_b32 exec_lo, exec_lo, s4
.LBB25_386:
	s_delay_alu instid0(SALU_CYCLE_1)
	s_or_b32 exec_lo, exec_lo, s3
	v_cmp_ne_u32_e32 vcc_lo, 31, v45
	v_and_b32_e32 v3, 0xff, v6
	v_lshlrev_b32_e64 v48, v45, -1
	s_mov_b32 s3, exec_lo
	v_add_co_ci_u32_e64 v2, null, 0, v45, vcc_lo
	s_delay_alu instid0(VALU_DEP_3) | instskip(NEXT) | instid1(VALU_DEP_2)
	v_cmp_eq_u16_e32 vcc_lo, 2, v3
	v_lshlrev_b32_e32 v47, 2, v2
	v_and_or_b32 v2, vcc_lo, v48, 0x80000000
	s_delay_alu instid0(VALU_DEP_1)
	v_ctz_i32_b32_e32 v7, v2
	v_mov_b32_e32 v2, v4
	ds_bpermute_b32 v14, v47, v4
	ds_bpermute_b32 v19, v47, v5
	v_cmpx_lt_u32_e64 v45, v7
	s_cbranch_execz .LBB25_388
; %bb.387:
	v_mov_b32_e32 v18, 0
	s_delay_alu instid0(VALU_DEP_1) | instskip(SKIP_1) | instid1(VALU_DEP_1)
	v_mov_b32_e32 v15, v18
	s_wait_dscnt 0x1
	v_add_nc_u64_e32 v[2:3], v[4:5], v[14:15]
	s_wait_dscnt 0x0
	s_delay_alu instid0(VALU_DEP_1)
	v_add_nc_u64_e32 v[4:5], v[18:19], v[2:3]
.LBB25_388:
	s_or_b32 exec_lo, exec_lo, s3
	v_cmp_gt_u32_e32 vcc_lo, 30, v45
	v_add_nc_u32_e32 v50, 2, v45
	s_mov_b32 s3, exec_lo
	v_cndmask_b32_e64 v3, 0, 2, vcc_lo
	s_delay_alu instid0(VALU_DEP_1)
	v_add_lshl_u32 v49, v3, v45, 2
	s_wait_dscnt 0x1
	ds_bpermute_b32 v14, v49, v2
	s_wait_dscnt 0x1
	ds_bpermute_b32 v19, v49, v5
	v_cmpx_le_u32_e64 v50, v7
	s_cbranch_execz .LBB25_390
; %bb.389:
	v_mov_b32_e32 v18, 0
	s_delay_alu instid0(VALU_DEP_1) | instskip(SKIP_1) | instid1(VALU_DEP_1)
	v_mov_b32_e32 v15, v18
	s_wait_dscnt 0x1
	v_add_nc_u64_e32 v[2:3], v[4:5], v[14:15]
	s_wait_dscnt 0x0
	s_delay_alu instid0(VALU_DEP_1)
	v_add_nc_u64_e32 v[4:5], v[18:19], v[2:3]
.LBB25_390:
	s_or_b32 exec_lo, exec_lo, s3
	v_cmp_gt_u32_e32 vcc_lo, 28, v45
	v_add_nc_u32_e32 v52, 4, v45
	s_mov_b32 s3, exec_lo
	v_cndmask_b32_e64 v3, 0, 4, vcc_lo
	s_delay_alu instid0(VALU_DEP_1)
	v_add_lshl_u32 v51, v3, v45, 2
	s_wait_dscnt 0x1
	ds_bpermute_b32 v14, v51, v2
	s_wait_dscnt 0x1
	ds_bpermute_b32 v19, v51, v5
	v_cmpx_le_u32_e64 v52, v7
	;; [unrolled: 23-line block ×3, first 2 shown]
	s_cbranch_execz .LBB25_394
; %bb.393:
	v_mov_b32_e32 v18, 0
	s_delay_alu instid0(VALU_DEP_1) | instskip(SKIP_1) | instid1(VALU_DEP_1)
	v_mov_b32_e32 v15, v18
	s_wait_dscnt 0x1
	v_add_nc_u64_e32 v[2:3], v[4:5], v[14:15]
	s_wait_dscnt 0x0
	s_delay_alu instid0(VALU_DEP_1)
	v_add_nc_u64_e32 v[4:5], v[18:19], v[2:3]
.LBB25_394:
	s_or_b32 exec_lo, exec_lo, s3
	v_lshl_or_b32 v55, v45, 2, 64
	v_add_nc_u32_e32 v56, 16, v45
	s_mov_b32 s3, exec_lo
	ds_bpermute_b32 v2, v55, v2
	ds_bpermute_b32 v15, v55, v5
	v_cmpx_le_u32_e64 v56, v7
	s_cbranch_execz .LBB25_396
; %bb.395:
	s_wait_dscnt 0x3
	v_mov_b32_e32 v14, 0
	s_delay_alu instid0(VALU_DEP_1) | instskip(SKIP_1) | instid1(VALU_DEP_1)
	v_mov_b32_e32 v3, v14
	s_wait_dscnt 0x1
	v_add_nc_u64_e32 v[2:3], v[4:5], v[2:3]
	s_wait_dscnt 0x0
	s_delay_alu instid0(VALU_DEP_1)
	v_add_nc_u64_e32 v[4:5], v[2:3], v[14:15]
.LBB25_396:
	s_or_b32 exec_lo, exec_lo, s3
	v_mov_b32_e32 v13, 0
	s_branch .LBB25_399
.LBB25_397:                             ;   in Loop: Header=BB25_399 Depth=1
	s_or_b32 exec_lo, exec_lo, s3
	s_delay_alu instid0(VALU_DEP_1)
	v_add_nc_u64_e32 v[4:5], v[4:5], v[2:3]
	v_subrev_nc_u32_e32 v12, 32, v12
	s_mov_b32 s3, 0
.LBB25_398:                             ;   in Loop: Header=BB25_399 Depth=1
	s_delay_alu instid0(SALU_CYCLE_1)
	s_and_b32 vcc_lo, exec_lo, s3
	s_cbranch_vccnz .LBB25_415
.LBB25_399:                             ; =>This Loop Header: Depth=1
                                        ;     Child Loop BB25_402 Depth 2
	s_wait_dscnt 0x1
	v_and_b32_e32 v2, 0xff, v6
	s_mov_b32 s3, -1
	s_delay_alu instid0(VALU_DEP_1)
	v_cmp_ne_u16_e32 vcc_lo, 2, v2
	v_mov_b64_e32 v[2:3], v[4:5]
                                        ; implicit-def: $vgpr4_vgpr5
	s_cmp_lg_u32 vcc_lo, exec_lo
	s_cbranch_scc1 .LBB25_398
; %bb.400:                              ;   in Loop: Header=BB25_399 Depth=1
	s_wait_dscnt 0x0
	v_lshl_add_u64 v[14:15], v[12:13], 4, s[16:17]
	;;#ASMSTART
	global_load_b128 v[4:7], v[14:15] off scope:SCOPE_DEV	
s_wait_loadcnt 0x0
	;;#ASMEND
	v_and_b32_e32 v7, 0xff, v6
	s_mov_b32 s3, exec_lo
	s_delay_alu instid0(VALU_DEP_1)
	v_cmpx_eq_u16_e32 0, v7
	s_cbranch_execz .LBB25_404
; %bb.401:                              ;   in Loop: Header=BB25_399 Depth=1
	s_mov_b32 s4, 0
.LBB25_402:                             ;   Parent Loop BB25_399 Depth=1
                                        ; =>  This Inner Loop Header: Depth=2
	;;#ASMSTART
	global_load_b128 v[4:7], v[14:15] off scope:SCOPE_DEV	
s_wait_loadcnt 0x0
	;;#ASMEND
	v_and_b32_e32 v7, 0xff, v6
	s_delay_alu instid0(VALU_DEP_1) | instskip(SKIP_1) | instid1(SALU_CYCLE_1)
	v_cmp_ne_u16_e32 vcc_lo, 0, v7
	s_or_b32 s4, vcc_lo, s4
	s_and_not1_b32 exec_lo, exec_lo, s4
	s_cbranch_execnz .LBB25_402
; %bb.403:                              ;   in Loop: Header=BB25_399 Depth=1
	s_or_b32 exec_lo, exec_lo, s4
.LBB25_404:                             ;   in Loop: Header=BB25_399 Depth=1
	s_delay_alu instid0(SALU_CYCLE_1)
	s_or_b32 exec_lo, exec_lo, s3
	v_and_b32_e32 v7, 0xff, v6
	ds_bpermute_b32 v18, v47, v4
	ds_bpermute_b32 v21, v47, v5
	v_mov_b32_e32 v14, v4
	s_mov_b32 s3, exec_lo
	v_cmp_eq_u16_e32 vcc_lo, 2, v7
	v_and_or_b32 v7, vcc_lo, v48, 0x80000000
	s_delay_alu instid0(VALU_DEP_1) | instskip(NEXT) | instid1(VALU_DEP_1)
	v_ctz_i32_b32_e32 v7, v7
	v_cmpx_lt_u32_e64 v45, v7
	s_cbranch_execz .LBB25_406
; %bb.405:                              ;   in Loop: Header=BB25_399 Depth=1
	v_dual_mov_b32 v19, v13 :: v_dual_mov_b32 v20, v13
	s_wait_dscnt 0x1
	s_delay_alu instid0(VALU_DEP_1) | instskip(SKIP_1) | instid1(VALU_DEP_1)
	v_add_nc_u64_e32 v[14:15], v[4:5], v[18:19]
	s_wait_dscnt 0x0
	v_add_nc_u64_e32 v[4:5], v[20:21], v[14:15]
.LBB25_406:                             ;   in Loop: Header=BB25_399 Depth=1
	s_or_b32 exec_lo, exec_lo, s3
	ds_bpermute_b32 v20, v49, v14
	ds_bpermute_b32 v19, v49, v5
	s_mov_b32 s3, exec_lo
	v_cmpx_le_u32_e64 v50, v7
	s_cbranch_execz .LBB25_408
; %bb.407:                              ;   in Loop: Header=BB25_399 Depth=1
	s_wait_dscnt 0x2
	v_dual_mov_b32 v21, v13 :: v_dual_mov_b32 v18, v13
	s_wait_dscnt 0x1
	s_delay_alu instid0(VALU_DEP_1) | instskip(SKIP_1) | instid1(VALU_DEP_1)
	v_add_nc_u64_e32 v[14:15], v[4:5], v[20:21]
	s_wait_dscnt 0x0
	v_add_nc_u64_e32 v[4:5], v[18:19], v[14:15]
.LBB25_408:                             ;   in Loop: Header=BB25_399 Depth=1
	s_or_b32 exec_lo, exec_lo, s3
	s_wait_dscnt 0x1
	ds_bpermute_b32 v20, v51, v14
	s_wait_dscnt 0x1
	ds_bpermute_b32 v19, v51, v5
	s_mov_b32 s3, exec_lo
	v_cmpx_le_u32_e64 v52, v7
	s_cbranch_execz .LBB25_410
; %bb.409:                              ;   in Loop: Header=BB25_399 Depth=1
	v_dual_mov_b32 v21, v13 :: v_dual_mov_b32 v18, v13
	s_wait_dscnt 0x1
	s_delay_alu instid0(VALU_DEP_1) | instskip(SKIP_1) | instid1(VALU_DEP_1)
	v_add_nc_u64_e32 v[14:15], v[4:5], v[20:21]
	s_wait_dscnt 0x0
	v_add_nc_u64_e32 v[4:5], v[18:19], v[14:15]
.LBB25_410:                             ;   in Loop: Header=BB25_399 Depth=1
	s_or_b32 exec_lo, exec_lo, s3
	s_wait_dscnt 0x1
	ds_bpermute_b32 v20, v53, v14
	s_wait_dscnt 0x1
	ds_bpermute_b32 v19, v53, v5
	s_mov_b32 s3, exec_lo
	v_cmpx_le_u32_e64 v54, v7
	s_cbranch_execz .LBB25_412
; %bb.411:                              ;   in Loop: Header=BB25_399 Depth=1
	v_dual_mov_b32 v21, v13 :: v_dual_mov_b32 v18, v13
	s_wait_dscnt 0x1
	s_delay_alu instid0(VALU_DEP_1) | instskip(SKIP_1) | instid1(VALU_DEP_1)
	v_add_nc_u64_e32 v[14:15], v[4:5], v[20:21]
	s_wait_dscnt 0x0
	v_add_nc_u64_e32 v[4:5], v[18:19], v[14:15]
.LBB25_412:                             ;   in Loop: Header=BB25_399 Depth=1
	s_or_b32 exec_lo, exec_lo, s3
	ds_bpermute_b32 v18, v55, v14
	ds_bpermute_b32 v15, v55, v5
	s_mov_b32 s3, exec_lo
	v_cmpx_le_u32_e64 v56, v7
	s_cbranch_execz .LBB25_397
; %bb.413:                              ;   in Loop: Header=BB25_399 Depth=1
	s_wait_dscnt 0x2
	v_dual_mov_b32 v19, v13 :: v_dual_mov_b32 v14, v13
	s_wait_dscnt 0x1
	s_delay_alu instid0(VALU_DEP_1) | instskip(SKIP_1) | instid1(VALU_DEP_1)
	v_add_nc_u64_e32 v[4:5], v[4:5], v[18:19]
	s_wait_dscnt 0x0
	v_add_nc_u64_e32 v[4:5], v[4:5], v[14:15]
	s_branch .LBB25_397
.LBB25_414:
                                        ; implicit-def: $vgpr2_vgpr3
                                        ; implicit-def: $vgpr4_vgpr5
	s_cbranch_execnz .LBB25_420
	s_branch .LBB25_445
.LBB25_415:
	s_and_saveexec_b32 s3, s1
	s_cbranch_execz .LBB25_417
; %bb.416:
	s_add_co_i32 s4, s20, 32
	s_mov_b32 s5, 0
	v_dual_mov_b32 v6, 2 :: v_dual_mov_b32 v7, 0
	s_lshl_b64 s[4:5], s[4:5], 4
	v_add_nc_u64_e32 v[4:5], v[2:3], v[0:1]
	s_add_nc_u64 s[4:5], s[16:17], s[4:5]
	s_delay_alu instid0(SALU_CYCLE_1)
	v_mov_b64_e32 v[12:13], s[4:5]
	;;#ASMSTART
	global_store_b128 v[12:13], v[4:7] off scope:SCOPE_DEV	
s_wait_storecnt 0x0
	;;#ASMEND
	ds_store_b128 v7, v[0:3] offset:64
.LBB25_417:
	s_or_b32 exec_lo, exec_lo, s3
	s_delay_alu instid0(SALU_CYCLE_1)
	s_and_b32 exec_lo, exec_lo, s0
; %bb.418:
	v_mov_b32_e32 v0, 0
	ds_store_b64 v0, v[2:3] offset:56
.LBB25_419:
	s_or_b32 exec_lo, exec_lo, s2
	v_mov_b32_e32 v0, 0
	s_wait_dscnt 0x0
	s_barrier_signal -1
	s_barrier_wait -1
	ds_load_b64 v[4:5], v0 offset:56
	s_wait_dscnt 0x0
	s_barrier_signal -1
	s_barrier_wait -1
	ds_load_b128 v[0:3], v0 offset:64
	s_wait_dscnt 0x0
	v_dual_cndmask_b32 v1, 0, v11, s1 :: v_dual_cndmask_b32 v6, v46, v10, s1
	s_delay_alu instid0(VALU_DEP_1) | instskip(NEXT) | instid1(VALU_DEP_2)
	v_cndmask_b32_e64 v7, v1, 0, s0
	v_cndmask_b32_e64 v6, v6, 0, s0
	s_delay_alu instid0(VALU_DEP_1)
	v_add_nc_u64_e32 v[4:5], v[4:5], v[6:7]
	s_branch .LBB25_445
.LBB25_420:
	v_dual_mov_b32 v3, 0 :: v_dual_bitop2_b32 v6, 15, v45 bitop3:0x40
	v_mov_b64_e32 v[0:1], v[8:9]
	v_mov_b32_dpp v2, v8 row_shr:1 row_mask:0xf bank_mask:0xf
	s_mov_b32 s1, exec_lo
	s_delay_alu instid0(VALU_DEP_3)
	v_mov_b32_dpp v5, v3 row_shr:1 row_mask:0xf bank_mask:0xf
	v_cmpx_ne_u32_e32 0, v6
; %bb.421:
	v_mov_b32_e32 v4, 0
	s_delay_alu instid0(VALU_DEP_1) | instskip(NEXT) | instid1(VALU_DEP_1)
	v_mov_b32_e32 v3, v4
	v_add_nc_u64_e32 v[8:9], v[2:3], v[8:9]
	s_delay_alu instid0(VALU_DEP_1) | instskip(NEXT) | instid1(VALU_DEP_1)
	v_add_nc_u64_e32 v[2:3], v[4:5], v[8:9]
	v_mov_b64_e32 v[0:1], v[2:3]
; %bb.422:
	s_or_b32 exec_lo, exec_lo, s1
	v_mov_b32_dpp v2, v8 row_shr:2 row_mask:0xf bank_mask:0xf
	v_mov_b32_dpp v5, v3 row_shr:2 row_mask:0xf bank_mask:0xf
	s_mov_b32 s1, exec_lo
	v_cmpx_lt_u32_e32 1, v6
; %bb.423:
	v_mov_b32_e32 v4, 0
	s_delay_alu instid0(VALU_DEP_1) | instskip(NEXT) | instid1(VALU_DEP_1)
	v_mov_b32_e32 v3, v4
	v_add_nc_u64_e32 v[8:9], v[0:1], v[2:3]
	s_delay_alu instid0(VALU_DEP_1) | instskip(NEXT) | instid1(VALU_DEP_1)
	v_add_nc_u64_e32 v[2:3], v[4:5], v[8:9]
	v_mov_b64_e32 v[0:1], v[2:3]
; %bb.424:
	s_or_b32 exec_lo, exec_lo, s1
	v_mov_b32_dpp v2, v8 row_shr:4 row_mask:0xf bank_mask:0xf
	v_mov_b32_dpp v5, v3 row_shr:4 row_mask:0xf bank_mask:0xf
	s_mov_b32 s1, exec_lo
	v_cmpx_lt_u32_e32 3, v6
	;; [unrolled: 14-line block ×3, first 2 shown]
; %bb.427:
	v_mov_b32_e32 v4, 0
	s_delay_alu instid0(VALU_DEP_1) | instskip(NEXT) | instid1(VALU_DEP_1)
	v_mov_b32_e32 v3, v4
	v_add_nc_u64_e32 v[8:9], v[0:1], v[2:3]
	s_delay_alu instid0(VALU_DEP_1) | instskip(NEXT) | instid1(VALU_DEP_1)
	v_add_nc_u64_e32 v[0:1], v[4:5], v[8:9]
	v_mov_b32_e32 v3, v1
; %bb.428:
	s_or_b32 exec_lo, exec_lo, s1
	ds_swizzle_b32 v2, v8 offset:swizzle(BROADCAST,32,15)
	ds_swizzle_b32 v5, v3 offset:swizzle(BROADCAST,32,15)
	v_and_b32_e32 v3, 16, v45
	s_mov_b32 s1, exec_lo
	s_delay_alu instid0(VALU_DEP_1)
	v_cmpx_ne_u32_e32 0, v3
	s_cbranch_execz .LBB25_430
; %bb.429:
	v_mov_b32_e32 v4, 0
	s_delay_alu instid0(VALU_DEP_1) | instskip(SKIP_1) | instid1(VALU_DEP_1)
	v_mov_b32_e32 v3, v4
	s_wait_dscnt 0x1
	v_add_nc_u64_e32 v[8:9], v[0:1], v[2:3]
	s_wait_dscnt 0x0
	s_delay_alu instid0(VALU_DEP_1)
	v_add_nc_u64_e32 v[0:1], v[4:5], v[8:9]
.LBB25_430:
	s_or_b32 exec_lo, exec_lo, s1
	s_wait_dscnt 0x1
	v_and_b32_e32 v2, 0x3e0, v16
	s_mov_b32 s1, exec_lo
	v_lshrrev_b32_e32 v9, 5, v16
	s_delay_alu instid0(VALU_DEP_2) | instskip(NEXT) | instid1(VALU_DEP_1)
	v_min_u32_e32 v2, 0xe0, v2
	v_or_b32_e32 v2, 31, v2
	s_delay_alu instid0(VALU_DEP_1)
	v_cmpx_eq_u32_e64 v16, v2
; %bb.431:
	s_delay_alu instid0(VALU_DEP_4)
	v_lshlrev_b32_e32 v2, 3, v9
	ds_store_b64 v2, v[0:1]
; %bb.432:
	s_or_b32 exec_lo, exec_lo, s1
	s_delay_alu instid0(SALU_CYCLE_1)
	s_mov_b32 s1, exec_lo
	s_wait_dscnt 0x0
	s_barrier_signal -1
	s_barrier_wait -1
	v_cmpx_gt_u32_e32 8, v16
	s_cbranch_execz .LBB25_440
; %bb.433:
	v_dual_lshlrev_b32 v10, 3, v16 :: v_dual_bitop2_b32 v11, 7, v45 bitop3:0x40
	s_mov_b32 s2, exec_lo
	ds_load_b64 v[0:1], v10
	s_wait_dscnt 0x0
	v_mov_b32_dpp v4, v0 row_shr:1 row_mask:0xf bank_mask:0xf
	v_mov_b32_dpp v7, v1 row_shr:1 row_mask:0xf bank_mask:0xf
	v_mov_b32_e32 v2, v0
	v_cmpx_ne_u32_e32 0, v11
; %bb.434:
	v_mov_b32_e32 v6, 0
	s_delay_alu instid0(VALU_DEP_1) | instskip(NEXT) | instid1(VALU_DEP_1)
	v_mov_b32_e32 v5, v6
	v_add_nc_u64_e32 v[2:3], v[0:1], v[4:5]
	s_delay_alu instid0(VALU_DEP_1)
	v_add_nc_u64_e32 v[0:1], v[6:7], v[2:3]
; %bb.435:
	s_or_b32 exec_lo, exec_lo, s2
	v_mov_b32_dpp v4, v2 row_shr:2 row_mask:0xf bank_mask:0xf
	s_delay_alu instid0(VALU_DEP_2)
	v_mov_b32_dpp v7, v1 row_shr:2 row_mask:0xf bank_mask:0xf
	s_mov_b32 s2, exec_lo
	v_cmpx_lt_u32_e32 1, v11
; %bb.436:
	v_mov_b32_e32 v6, 0
	s_delay_alu instid0(VALU_DEP_1) | instskip(NEXT) | instid1(VALU_DEP_1)
	v_mov_b32_e32 v5, v6
	v_add_nc_u64_e32 v[2:3], v[0:1], v[4:5]
	s_delay_alu instid0(VALU_DEP_1)
	v_add_nc_u64_e32 v[0:1], v[6:7], v[2:3]
; %bb.437:
	s_or_b32 exec_lo, exec_lo, s2
	v_mov_b32_dpp v2, v2 row_shr:4 row_mask:0xf bank_mask:0xf
	s_delay_alu instid0(VALU_DEP_2)
	v_mov_b32_dpp v5, v1 row_shr:4 row_mask:0xf bank_mask:0xf
	s_mov_b32 s2, exec_lo
	v_cmpx_lt_u32_e32 3, v11
; %bb.438:
	v_mov_b32_e32 v4, 0
	s_delay_alu instid0(VALU_DEP_1) | instskip(NEXT) | instid1(VALU_DEP_1)
	v_mov_b32_e32 v3, v4
	v_add_nc_u64_e32 v[0:1], v[0:1], v[2:3]
	s_delay_alu instid0(VALU_DEP_1)
	v_add_nc_u64_e32 v[0:1], v[0:1], v[4:5]
; %bb.439:
	s_or_b32 exec_lo, exec_lo, s2
	ds_store_b64 v10, v[0:1]
.LBB25_440:
	s_or_b32 exec_lo, exec_lo, s1
	v_mov_b64_e32 v[2:3], 0
	s_mov_b32 s1, exec_lo
	s_wait_dscnt 0x0
	s_barrier_signal -1
	s_barrier_wait -1
	v_cmpx_lt_u32_e32 31, v16
; %bb.441:
	v_lshl_add_u32 v0, v9, 3, -8
	ds_load_b64 v[2:3], v0
; %bb.442:
	s_or_b32 exec_lo, exec_lo, s1
	v_sub_co_u32 v0, vcc_lo, v45, 1
	s_wait_dscnt 0x0
	v_mov_b32_e32 v3, 0
	s_delay_alu instid0(VALU_DEP_2) | instskip(NEXT) | instid1(VALU_DEP_1)
	v_cmp_gt_i32_e64 s1, 0, v0
	v_cndmask_b32_e64 v0, v0, v45, s1
	s_delay_alu instid0(VALU_DEP_1)
	v_dual_add_nc_u32 v1, v8, v2 :: v_dual_lshlrev_b32 v0, 2, v0
	ds_bpermute_b32 v4, v0, v1
	ds_load_b64 v[0:1], v3 offset:56
	s_wait_dscnt 0x1
	v_cndmask_b32_e32 v4, v4, v2, vcc_lo
	s_and_saveexec_b32 s1, s0
	s_cbranch_execz .LBB25_444
; %bb.443:
	s_add_nc_u64 s[2:3], s[16:17], 0x200
	v_mov_b32_e32 v2, 2
	v_mov_b64_e32 v[6:7], s[2:3]
	s_wait_dscnt 0x0
	;;#ASMSTART
	global_store_b128 v[6:7], v[0:3] off scope:SCOPE_DEV	
s_wait_storecnt 0x0
	;;#ASMEND
.LBB25_444:
	s_or_b32 exec_lo, exec_lo, s1
	v_mov_b64_e32 v[2:3], 0
.LBB25_445:
	s_wait_dscnt 0x0
	s_delay_alu instid0(VALU_DEP_1)
	v_sub_nc_u32_e32 v1, v4, v2
	s_barrier_signal -1
	s_barrier_wait -1
	s_and_saveexec_b32 s0, s13
	s_cbranch_execnz .LBB25_483
; %bb.446:
	s_or_b32 exec_lo, exec_lo, s0
	s_and_saveexec_b32 s0, s11
	s_cbranch_execnz .LBB25_484
.LBB25_447:
	s_or_b32 exec_lo, exec_lo, s0
	s_and_saveexec_b32 s0, s14
	s_cbranch_execnz .LBB25_485
.LBB25_448:
	s_or_b32 exec_lo, exec_lo, s0
	s_and_saveexec_b32 s0, s10
	s_cbranch_execnz .LBB25_486
.LBB25_449:
	s_or_b32 exec_lo, exec_lo, s0
	s_and_saveexec_b32 s0, s9
	s_cbranch_execnz .LBB25_487
.LBB25_450:
	s_or_b32 exec_lo, exec_lo, s0
	s_and_saveexec_b32 s0, s8
.LBB25_451:
	v_dual_lshlrev_b32 v4, 2, v1 :: v_dual_add_nc_u32 v1, 1, v1
	ds_store_b32 v4, v28 offset:1024
.LBB25_452:
	s_or_b32 exec_lo, exec_lo, s0
	v_and_b32_e32 v4, 64, v44
	s_mov_b32 s0, exec_lo
	s_delay_alu instid0(VALU_DEP_1)
	v_cmpx_ne_u32_e32 0, v4
; %bb.453:
	v_dual_lshlrev_b32 v4, 2, v1 :: v_dual_add_nc_u32 v1, 1, v1
	ds_store_b32 v4, v29 offset:1024
; %bb.454:
	s_or_b32 exec_lo, exec_lo, s0
	v_and_b32_e32 v4, 0x80, v43
	s_mov_b32 s0, exec_lo
	s_delay_alu instid0(VALU_DEP_1)
	v_cmpx_ne_u32_e32 0, v4
; %bb.455:
	v_dual_lshlrev_b32 v4, 2, v1 :: v_dual_add_nc_u32 v1, 1, v1
	ds_store_b32 v4, v30 offset:1024
; %bb.456:
	;; [unrolled: 9-line block ×9, first 2 shown]
	s_or_b32 exec_lo, exec_lo, s0
	v_and_b32_e32 v4, 0x8000, v39
	s_mov_b32 s0, exec_lo
	s_delay_alu instid0(VALU_DEP_1)
	v_cmpx_ne_u32_e32 0, v4
; %bb.471:
	v_lshlrev_b32_e32 v1, 2, v1
	ds_store_b32 v1, v38 offset:1024
; %bb.472:
	s_or_b32 exec_lo, exec_lo, s0
	s_wait_dscnt 0x0
	s_barrier_signal -1
	s_barrier_wait -1
	s_mov_b32 s0, exec_lo
	v_cmpx_lt_i32_e64 v16, v0
	s_cbranch_execz .LBB25_482
; %bb.473:
	v_lshlrev_b64_e32 v[2:3], 2, v[2:3]
	v_xad_u32 v1, v16, -1, v0
	s_mov_b32 s1, -1
	s_mov_b32 s0, exec_lo
	s_delay_alu instid0(VALU_DEP_1)
	v_cmpx_lt_u32_e32 0xff, v1
	s_cbranch_execz .LBB25_479
; %bb.474:
	v_dual_lshrrev_b32 v1, 8, v1 :: v_dual_mov_b32 v17, v22
	v_add_nc_u64_e32 v[4:5], s[18:19], v[2:3]
	v_lshl_add_u32 v11, v16, 2, 0x400
	s_mov_b32 s1, 0
	s_delay_alu instid0(VALU_DEP_3) | instskip(SKIP_1) | instid1(VALU_DEP_2)
	v_dual_mov_b32 v7, 0 :: v_dual_add_nc_u32 v10, 1, v1
	v_mov_b64_e32 v[8:9], v[16:17]
	v_and_b32_e32 v1, 0x1fffffe, v10
	s_delay_alu instid0(VALU_DEP_1)
	v_mov_b32_e32 v12, v1
.LBB25_475:                             ; =>This Inner Loop Header: Depth=1
	ds_load_2addr_stride64_b32 v[14:15], v11 offset1:4
	v_dual_mov_b32 v6, v8 :: v_dual_add_nc_u32 v12, -2, v12
	v_add_nc_u32_e32 v8, 0x200, v8
	v_add_nc_u32_e32 v11, 0x800, v11
	s_delay_alu instid0(VALU_DEP_3) | instskip(SKIP_3) | instid1(VALU_DEP_3)
	v_lshl_add_u64 v[18:19], v[6:7], 2, v[4:5]
	v_mov_b32_e32 v6, v9
	v_cmp_eq_u32_e32 vcc_lo, 0, v12
	v_add_nc_u32_e32 v9, 0x200, v9
	v_lshl_add_u64 v[20:21], v[6:7], 2, v[4:5]
	s_or_b32 s1, vcc_lo, s1
	s_wait_dscnt 0x0
	s_clause 0x1
	global_store_b32 v[18:19], v14, off
	global_store_b32 v[20:21], v15, off
	s_wait_xcnt 0x0
	s_and_not1_b32 exec_lo, exec_lo, s1
	s_cbranch_execnz .LBB25_475
; %bb.476:
	s_or_b32 exec_lo, exec_lo, s1
	s_mov_b32 s1, 0
	s_mov_b32 s2, exec_lo
	v_cmpx_ne_u32_e64 v10, v1
; %bb.477:
	v_lshl_add_u32 v16, v1, 8, v16
	v_mov_b32_e32 v17, 0
	s_mov_b32 s1, exec_lo
; %bb.478:
	s_or_b32 exec_lo, exec_lo, s2
	s_delay_alu instid0(SALU_CYCLE_1)
	s_or_not1_b32 s1, s1, exec_lo
.LBB25_479:
	s_or_b32 exec_lo, exec_lo, s0
	s_delay_alu instid0(SALU_CYCLE_1)
	s_and_b32 exec_lo, exec_lo, s1
	s_cbranch_execz .LBB25_482
; %bb.480:
	v_add_nc_u64_e32 v[2:3], s[18:19], v[2:3]
	v_lshl_add_u32 v1, v16, 2, 0x400
	s_mov_b32 s0, 0
	s_delay_alu instid0(VALU_DEP_2)
	v_lshl_add_u64 v[2:3], v[16:17], 2, v[2:3]
.LBB25_481:                             ; =>This Inner Loop Header: Depth=1
	ds_load_b32 v4, v1
	v_add_nc_u32_e32 v16, 0x100, v16
	v_add_nc_u32_e32 v1, 0x400, v1
	s_delay_alu instid0(VALU_DEP_2)
	v_cmp_ge_i32_e32 vcc_lo, v16, v0
	s_or_b32 s0, vcc_lo, s0
	s_wait_dscnt 0x0
	global_store_b32 v[2:3], v4, off
	s_wait_xcnt 0x0
	v_add_nc_u64_e32 v[2:3], 0x400, v[2:3]
	s_and_not1_b32 exec_lo, exec_lo, s0
	s_cbranch_execnz .LBB25_481
.LBB25_482:
	s_endpgm
.LBB25_483:
	v_dual_add_nc_u32 v4, 1, v1 :: v_dual_lshlrev_b32 v5, 2, v1
	s_delay_alu instid0(VALU_DEP_1)
	v_mov_b32_e32 v1, v4
	ds_store_b32 v5, v23 offset:1024
	s_or_b32 exec_lo, exec_lo, s0
	s_and_saveexec_b32 s0, s11
	s_cbranch_execz .LBB25_447
.LBB25_484:
	v_dual_lshlrev_b32 v4, 2, v1 :: v_dual_add_nc_u32 v1, 1, v1
	ds_store_b32 v4, v24 offset:1024
	s_or_b32 exec_lo, exec_lo, s0
	s_and_saveexec_b32 s0, s14
	s_cbranch_execz .LBB25_448
.LBB25_485:
	v_dual_lshlrev_b32 v4, 2, v1 :: v_dual_add_nc_u32 v1, 1, v1
	ds_store_b32 v4, v25 offset:1024
	s_or_b32 exec_lo, exec_lo, s0
	s_and_saveexec_b32 s0, s10
	s_cbranch_execz .LBB25_449
.LBB25_486:
	v_dual_lshlrev_b32 v4, 2, v1 :: v_dual_add_nc_u32 v1, 1, v1
	ds_store_b32 v4, v26 offset:1024
	s_or_b32 exec_lo, exec_lo, s0
	s_and_saveexec_b32 s0, s9
	s_cbranch_execz .LBB25_450
.LBB25_487:
	v_dual_lshlrev_b32 v4, 2, v1 :: v_dual_add_nc_u32 v1, 1, v1
	ds_store_b32 v4, v27 offset:1024
	s_or_b32 exec_lo, exec_lo, s0
	s_and_saveexec_b32 s0, s8
	s_cbranch_execnz .LBB25_451
	s_branch .LBB25_452
	.section	.rodata,"a",@progbits
	.p2align	6, 0x0
	.amdhsa_kernel _ZN6thrust23THRUST_200600_302600_NS11hip_rocprim16__set_operations22lookback_set_op_kernelIN7rocprim17ROCPRIM_400000_NS13kernel_configILj256ELj16ELj4294967295EEELb0ENS0_6detail15normal_iteratorINS0_10device_ptrIKiEEEESD_PiSE_lNS9_INSA_IiEEEESE_NS0_4lessIiEENS2_21serial_set_differenceENS5_6detail19lookback_scan_stateIlLb0ELb1EEEEEvT1_T2_T3_T4_T6_T7_T8_T9_PNS0_4pairIT5_SW_EEPSW_T10_NSK_16ordered_block_idIjEE
		.amdhsa_group_segment_fixed_size 36868
		.amdhsa_private_segment_fixed_size 0
		.amdhsa_kernarg_size 344
		.amdhsa_user_sgpr_count 2
		.amdhsa_user_sgpr_dispatch_ptr 0
		.amdhsa_user_sgpr_queue_ptr 0
		.amdhsa_user_sgpr_kernarg_segment_ptr 1
		.amdhsa_user_sgpr_dispatch_id 0
		.amdhsa_user_sgpr_kernarg_preload_length 0
		.amdhsa_user_sgpr_kernarg_preload_offset 0
		.amdhsa_user_sgpr_private_segment_size 0
		.amdhsa_wavefront_size32 1
		.amdhsa_uses_dynamic_stack 0
		.amdhsa_enable_private_segment 0
		.amdhsa_system_sgpr_workgroup_id_x 1
		.amdhsa_system_sgpr_workgroup_id_y 0
		.amdhsa_system_sgpr_workgroup_id_z 0
		.amdhsa_system_sgpr_workgroup_info 0
		.amdhsa_system_vgpr_workitem_id 2
		.amdhsa_next_free_vgpr 61
		.amdhsa_next_free_sgpr 39
		.amdhsa_named_barrier_count 0
		.amdhsa_reserve_vcc 1
		.amdhsa_float_round_mode_32 0
		.amdhsa_float_round_mode_16_64 0
		.amdhsa_float_denorm_mode_32 3
		.amdhsa_float_denorm_mode_16_64 3
		.amdhsa_fp16_overflow 0
		.amdhsa_memory_ordered 1
		.amdhsa_forward_progress 1
		.amdhsa_inst_pref_size 169
		.amdhsa_round_robin_scheduling 0
		.amdhsa_exception_fp_ieee_invalid_op 0
		.amdhsa_exception_fp_denorm_src 0
		.amdhsa_exception_fp_ieee_div_zero 0
		.amdhsa_exception_fp_ieee_overflow 0
		.amdhsa_exception_fp_ieee_underflow 0
		.amdhsa_exception_fp_ieee_inexact 0
		.amdhsa_exception_int_div_zero 0
	.end_amdhsa_kernel
	.section	.text._ZN6thrust23THRUST_200600_302600_NS11hip_rocprim16__set_operations22lookback_set_op_kernelIN7rocprim17ROCPRIM_400000_NS13kernel_configILj256ELj16ELj4294967295EEELb0ENS0_6detail15normal_iteratorINS0_10device_ptrIKiEEEESD_PiSE_lNS9_INSA_IiEEEESE_NS0_4lessIiEENS2_21serial_set_differenceENS5_6detail19lookback_scan_stateIlLb0ELb1EEEEEvT1_T2_T3_T4_T6_T7_T8_T9_PNS0_4pairIT5_SW_EEPSW_T10_NSK_16ordered_block_idIjEE,"axG",@progbits,_ZN6thrust23THRUST_200600_302600_NS11hip_rocprim16__set_operations22lookback_set_op_kernelIN7rocprim17ROCPRIM_400000_NS13kernel_configILj256ELj16ELj4294967295EEELb0ENS0_6detail15normal_iteratorINS0_10device_ptrIKiEEEESD_PiSE_lNS9_INSA_IiEEEESE_NS0_4lessIiEENS2_21serial_set_differenceENS5_6detail19lookback_scan_stateIlLb0ELb1EEEEEvT1_T2_T3_T4_T6_T7_T8_T9_PNS0_4pairIT5_SW_EEPSW_T10_NSK_16ordered_block_idIjEE,comdat
.Lfunc_end25:
	.size	_ZN6thrust23THRUST_200600_302600_NS11hip_rocprim16__set_operations22lookback_set_op_kernelIN7rocprim17ROCPRIM_400000_NS13kernel_configILj256ELj16ELj4294967295EEELb0ENS0_6detail15normal_iteratorINS0_10device_ptrIKiEEEESD_PiSE_lNS9_INSA_IiEEEESE_NS0_4lessIiEENS2_21serial_set_differenceENS5_6detail19lookback_scan_stateIlLb0ELb1EEEEEvT1_T2_T3_T4_T6_T7_T8_T9_PNS0_4pairIT5_SW_EEPSW_T10_NSK_16ordered_block_idIjEE, .Lfunc_end25-_ZN6thrust23THRUST_200600_302600_NS11hip_rocprim16__set_operations22lookback_set_op_kernelIN7rocprim17ROCPRIM_400000_NS13kernel_configILj256ELj16ELj4294967295EEELb0ENS0_6detail15normal_iteratorINS0_10device_ptrIKiEEEESD_PiSE_lNS9_INSA_IiEEEESE_NS0_4lessIiEENS2_21serial_set_differenceENS5_6detail19lookback_scan_stateIlLb0ELb1EEEEEvT1_T2_T3_T4_T6_T7_T8_T9_PNS0_4pairIT5_SW_EEPSW_T10_NSK_16ordered_block_idIjEE
                                        ; -- End function
	.set _ZN6thrust23THRUST_200600_302600_NS11hip_rocprim16__set_operations22lookback_set_op_kernelIN7rocprim17ROCPRIM_400000_NS13kernel_configILj256ELj16ELj4294967295EEELb0ENS0_6detail15normal_iteratorINS0_10device_ptrIKiEEEESD_PiSE_lNS9_INSA_IiEEEESE_NS0_4lessIiEENS2_21serial_set_differenceENS5_6detail19lookback_scan_stateIlLb0ELb1EEEEEvT1_T2_T3_T4_T6_T7_T8_T9_PNS0_4pairIT5_SW_EEPSW_T10_NSK_16ordered_block_idIjEE.num_vgpr, 61
	.set _ZN6thrust23THRUST_200600_302600_NS11hip_rocprim16__set_operations22lookback_set_op_kernelIN7rocprim17ROCPRIM_400000_NS13kernel_configILj256ELj16ELj4294967295EEELb0ENS0_6detail15normal_iteratorINS0_10device_ptrIKiEEEESD_PiSE_lNS9_INSA_IiEEEESE_NS0_4lessIiEENS2_21serial_set_differenceENS5_6detail19lookback_scan_stateIlLb0ELb1EEEEEvT1_T2_T3_T4_T6_T7_T8_T9_PNS0_4pairIT5_SW_EEPSW_T10_NSK_16ordered_block_idIjEE.num_agpr, 0
	.set _ZN6thrust23THRUST_200600_302600_NS11hip_rocprim16__set_operations22lookback_set_op_kernelIN7rocprim17ROCPRIM_400000_NS13kernel_configILj256ELj16ELj4294967295EEELb0ENS0_6detail15normal_iteratorINS0_10device_ptrIKiEEEESD_PiSE_lNS9_INSA_IiEEEESE_NS0_4lessIiEENS2_21serial_set_differenceENS5_6detail19lookback_scan_stateIlLb0ELb1EEEEEvT1_T2_T3_T4_T6_T7_T8_T9_PNS0_4pairIT5_SW_EEPSW_T10_NSK_16ordered_block_idIjEE.numbered_sgpr, 39
	.set _ZN6thrust23THRUST_200600_302600_NS11hip_rocprim16__set_operations22lookback_set_op_kernelIN7rocprim17ROCPRIM_400000_NS13kernel_configILj256ELj16ELj4294967295EEELb0ENS0_6detail15normal_iteratorINS0_10device_ptrIKiEEEESD_PiSE_lNS9_INSA_IiEEEESE_NS0_4lessIiEENS2_21serial_set_differenceENS5_6detail19lookback_scan_stateIlLb0ELb1EEEEEvT1_T2_T3_T4_T6_T7_T8_T9_PNS0_4pairIT5_SW_EEPSW_T10_NSK_16ordered_block_idIjEE.num_named_barrier, 0
	.set _ZN6thrust23THRUST_200600_302600_NS11hip_rocprim16__set_operations22lookback_set_op_kernelIN7rocprim17ROCPRIM_400000_NS13kernel_configILj256ELj16ELj4294967295EEELb0ENS0_6detail15normal_iteratorINS0_10device_ptrIKiEEEESD_PiSE_lNS9_INSA_IiEEEESE_NS0_4lessIiEENS2_21serial_set_differenceENS5_6detail19lookback_scan_stateIlLb0ELb1EEEEEvT1_T2_T3_T4_T6_T7_T8_T9_PNS0_4pairIT5_SW_EEPSW_T10_NSK_16ordered_block_idIjEE.private_seg_size, 0
	.set _ZN6thrust23THRUST_200600_302600_NS11hip_rocprim16__set_operations22lookback_set_op_kernelIN7rocprim17ROCPRIM_400000_NS13kernel_configILj256ELj16ELj4294967295EEELb0ENS0_6detail15normal_iteratorINS0_10device_ptrIKiEEEESD_PiSE_lNS9_INSA_IiEEEESE_NS0_4lessIiEENS2_21serial_set_differenceENS5_6detail19lookback_scan_stateIlLb0ELb1EEEEEvT1_T2_T3_T4_T6_T7_T8_T9_PNS0_4pairIT5_SW_EEPSW_T10_NSK_16ordered_block_idIjEE.uses_vcc, 1
	.set _ZN6thrust23THRUST_200600_302600_NS11hip_rocprim16__set_operations22lookback_set_op_kernelIN7rocprim17ROCPRIM_400000_NS13kernel_configILj256ELj16ELj4294967295EEELb0ENS0_6detail15normal_iteratorINS0_10device_ptrIKiEEEESD_PiSE_lNS9_INSA_IiEEEESE_NS0_4lessIiEENS2_21serial_set_differenceENS5_6detail19lookback_scan_stateIlLb0ELb1EEEEEvT1_T2_T3_T4_T6_T7_T8_T9_PNS0_4pairIT5_SW_EEPSW_T10_NSK_16ordered_block_idIjEE.uses_flat_scratch, 0
	.set _ZN6thrust23THRUST_200600_302600_NS11hip_rocprim16__set_operations22lookback_set_op_kernelIN7rocprim17ROCPRIM_400000_NS13kernel_configILj256ELj16ELj4294967295EEELb0ENS0_6detail15normal_iteratorINS0_10device_ptrIKiEEEESD_PiSE_lNS9_INSA_IiEEEESE_NS0_4lessIiEENS2_21serial_set_differenceENS5_6detail19lookback_scan_stateIlLb0ELb1EEEEEvT1_T2_T3_T4_T6_T7_T8_T9_PNS0_4pairIT5_SW_EEPSW_T10_NSK_16ordered_block_idIjEE.has_dyn_sized_stack, 0
	.set _ZN6thrust23THRUST_200600_302600_NS11hip_rocprim16__set_operations22lookback_set_op_kernelIN7rocprim17ROCPRIM_400000_NS13kernel_configILj256ELj16ELj4294967295EEELb0ENS0_6detail15normal_iteratorINS0_10device_ptrIKiEEEESD_PiSE_lNS9_INSA_IiEEEESE_NS0_4lessIiEENS2_21serial_set_differenceENS5_6detail19lookback_scan_stateIlLb0ELb1EEEEEvT1_T2_T3_T4_T6_T7_T8_T9_PNS0_4pairIT5_SW_EEPSW_T10_NSK_16ordered_block_idIjEE.has_recursion, 0
	.set _ZN6thrust23THRUST_200600_302600_NS11hip_rocprim16__set_operations22lookback_set_op_kernelIN7rocprim17ROCPRIM_400000_NS13kernel_configILj256ELj16ELj4294967295EEELb0ENS0_6detail15normal_iteratorINS0_10device_ptrIKiEEEESD_PiSE_lNS9_INSA_IiEEEESE_NS0_4lessIiEENS2_21serial_set_differenceENS5_6detail19lookback_scan_stateIlLb0ELb1EEEEEvT1_T2_T3_T4_T6_T7_T8_T9_PNS0_4pairIT5_SW_EEPSW_T10_NSK_16ordered_block_idIjEE.has_indirect_call, 0
	.section	.AMDGPU.csdata,"",@progbits
; Kernel info:
; codeLenInByte = 21556
; TotalNumSgprs: 41
; NumVgprs: 61
; ScratchSize: 0
; MemoryBound: 0
; FloatMode: 240
; IeeeMode: 1
; LDSByteSize: 36868 bytes/workgroup (compile time only)
; SGPRBlocks: 0
; VGPRBlocks: 3
; NumSGPRsForWavesPerEU: 41
; NumVGPRsForWavesPerEU: 61
; NamedBarCnt: 0
; Occupancy: 16
; WaveLimiterHint : 1
; COMPUTE_PGM_RSRC2:SCRATCH_EN: 0
; COMPUTE_PGM_RSRC2:USER_SGPR: 2
; COMPUTE_PGM_RSRC2:TRAP_HANDLER: 0
; COMPUTE_PGM_RSRC2:TGID_X_EN: 1
; COMPUTE_PGM_RSRC2:TGID_Y_EN: 0
; COMPUTE_PGM_RSRC2:TGID_Z_EN: 0
; COMPUTE_PGM_RSRC2:TIDIG_COMP_CNT: 2
	.section	.text._ZN6thrust23THRUST_200600_302600_NS11hip_rocprim14__parallel_for6kernelILj256EZNS1_16__set_operations9doit_stepILb0ENS0_6detail15normal_iteratorINS0_10device_ptrIKiEEEESB_PiSC_lNS7_INS8_IiEEEESC_NS0_4lessIiEENS4_31serial_set_symmetric_differenceEEE10hipError_tPvRmT0_T1_T2_T3_T4_SP_T5_T6_PSP_T7_T8_P12ihipStream_tbEUllE_jLj1EEEvSL_SM_SM_,"axG",@progbits,_ZN6thrust23THRUST_200600_302600_NS11hip_rocprim14__parallel_for6kernelILj256EZNS1_16__set_operations9doit_stepILb0ENS0_6detail15normal_iteratorINS0_10device_ptrIKiEEEESB_PiSC_lNS7_INS8_IiEEEESC_NS0_4lessIiEENS4_31serial_set_symmetric_differenceEEE10hipError_tPvRmT0_T1_T2_T3_T4_SP_T5_T6_PSP_T7_T8_P12ihipStream_tbEUllE_jLj1EEEvSL_SM_SM_,comdat
	.protected	_ZN6thrust23THRUST_200600_302600_NS11hip_rocprim14__parallel_for6kernelILj256EZNS1_16__set_operations9doit_stepILb0ENS0_6detail15normal_iteratorINS0_10device_ptrIKiEEEESB_PiSC_lNS7_INS8_IiEEEESC_NS0_4lessIiEENS4_31serial_set_symmetric_differenceEEE10hipError_tPvRmT0_T1_T2_T3_T4_SP_T5_T6_PSP_T7_T8_P12ihipStream_tbEUllE_jLj1EEEvSL_SM_SM_ ; -- Begin function _ZN6thrust23THRUST_200600_302600_NS11hip_rocprim14__parallel_for6kernelILj256EZNS1_16__set_operations9doit_stepILb0ENS0_6detail15normal_iteratorINS0_10device_ptrIKiEEEESB_PiSC_lNS7_INS8_IiEEEESC_NS0_4lessIiEENS4_31serial_set_symmetric_differenceEEE10hipError_tPvRmT0_T1_T2_T3_T4_SP_T5_T6_PSP_T7_T8_P12ihipStream_tbEUllE_jLj1EEEvSL_SM_SM_
	.globl	_ZN6thrust23THRUST_200600_302600_NS11hip_rocprim14__parallel_for6kernelILj256EZNS1_16__set_operations9doit_stepILb0ENS0_6detail15normal_iteratorINS0_10device_ptrIKiEEEESB_PiSC_lNS7_INS8_IiEEEESC_NS0_4lessIiEENS4_31serial_set_symmetric_differenceEEE10hipError_tPvRmT0_T1_T2_T3_T4_SP_T5_T6_PSP_T7_T8_P12ihipStream_tbEUllE_jLj1EEEvSL_SM_SM_
	.p2align	8
	.type	_ZN6thrust23THRUST_200600_302600_NS11hip_rocprim14__parallel_for6kernelILj256EZNS1_16__set_operations9doit_stepILb0ENS0_6detail15normal_iteratorINS0_10device_ptrIKiEEEESB_PiSC_lNS7_INS8_IiEEEESC_NS0_4lessIiEENS4_31serial_set_symmetric_differenceEEE10hipError_tPvRmT0_T1_T2_T3_T4_SP_T5_T6_PSP_T7_T8_P12ihipStream_tbEUllE_jLj1EEEvSL_SM_SM_,@function
_ZN6thrust23THRUST_200600_302600_NS11hip_rocprim14__parallel_for6kernelILj256EZNS1_16__set_operations9doit_stepILb0ENS0_6detail15normal_iteratorINS0_10device_ptrIKiEEEESB_PiSC_lNS7_INS8_IiEEEESC_NS0_4lessIiEENS4_31serial_set_symmetric_differenceEEE10hipError_tPvRmT0_T1_T2_T3_T4_SP_T5_T6_PSP_T7_T8_P12ihipStream_tbEUllE_jLj1EEEvSL_SM_SM_: ; @_ZN6thrust23THRUST_200600_302600_NS11hip_rocprim14__parallel_for6kernelILj256EZNS1_16__set_operations9doit_stepILb0ENS0_6detail15normal_iteratorINS0_10device_ptrIKiEEEESB_PiSC_lNS7_INS8_IiEEEESC_NS0_4lessIiEENS4_31serial_set_symmetric_differenceEEE10hipError_tPvRmT0_T1_T2_T3_T4_SP_T5_T6_PSP_T7_T8_P12ihipStream_tbEUllE_jLj1EEEvSL_SM_SM_
; %bb.0:
	s_clause 0x2
	s_load_b64 s[12:13], s[0:1], 0x30
	s_load_b64 s[2:3], s[0:1], 0x20
	s_load_b256 s[4:11], s[0:1], 0x0
	s_wait_xcnt 0x0
	s_bfe_u32 s0, ttmp6, 0x4000c
	s_and_b32 s1, ttmp6, 15
	s_add_co_i32 s0, s0, 1
	s_getreg_b32 s14, hwreg(HW_REG_IB_STS2, 6, 4)
	s_mul_i32 s0, ttmp9, s0
	s_delay_alu instid0(SALU_CYCLE_1) | instskip(SKIP_2) | instid1(SALU_CYCLE_1)
	s_add_co_i32 s1, s1, s0
	s_cmp_eq_u32 s14, 0
	s_cselect_b32 s0, ttmp9, s1
	s_lshl_b32 s0, s0, 8
	s_wait_kmcnt 0x0
	s_add_co_i32 s1, s13, s0
	s_mov_b32 s0, -1
	s_sub_co_i32 s12, s12, s1
	s_delay_alu instid0(SALU_CYCLE_1)
	s_cmp_gt_u32 s12, 0xff
	s_cbranch_scc0 .LBB26_3
; %bb.1:
	s_and_not1_b32 vcc_lo, exec_lo, s0
	s_cbranch_vccz .LBB26_40
.LBB26_2:
	s_endpgm
.LBB26_3:
	v_cmp_gt_u32_e32 vcc_lo, s12, v0
	s_and_saveexec_b32 s12, vcc_lo
	s_cbranch_execz .LBB26_39
; %bb.4:
	v_dual_mov_b32 v7, 0 :: v_dual_add_nc_u32 v6, s1, v0
	s_add_nc_u64 s[14:15], s[6:7], s[4:5]
	s_mov_b32 s0, exec_lo
	s_delay_alu instid0(VALU_DEP_1) | instskip(NEXT) | instid1(VALU_DEP_1)
	v_mul_u64_e32 v[2:3], 0xfff, v[6:7]
	v_min_i64 v[4:5], s[14:15], v[2:3]
	s_delay_alu instid0(VALU_DEP_1) | instskip(SKIP_1) | instid1(VALU_DEP_2)
	v_sub_nc_u64_e64 v[2:3], v[4:5], s[6:7]
	v_min_i64 v[8:9], s[4:5], v[4:5]
	v_max_i64 v[2:3], v[2:3], 0
	s_delay_alu instid0(VALU_DEP_1)
	v_cmpx_lt_i64_e64 v[2:3], v[8:9]
	s_cbranch_execz .LBB26_8
; %bb.5:
	v_lshl_add_u64 v[10:11], v[4:5], 2, s[2:3]
	s_mov_b32 s13, 0
.LBB26_6:                               ; =>This Inner Loop Header: Depth=1
	v_add_nc_u64_e32 v[12:13], v[8:9], v[2:3]
	s_delay_alu instid0(VALU_DEP_1) | instskip(NEXT) | instid1(VALU_DEP_1)
	v_lshrrev_b64 v[12:13], 1, v[12:13]
	v_lshlrev_b64_e32 v[14:15], 2, v[12:13]
	s_delay_alu instid0(VALU_DEP_1) | instskip(NEXT) | instid1(VALU_DEP_2)
	v_xor_b32_e32 v17, -1, v15
	v_xor_b32_e32 v16, -4, v14
	v_add_nc_u64_e32 v[14:15], s[10:11], v[14:15]
	s_delay_alu instid0(VALU_DEP_2)
	v_add_nc_u64_e32 v[16:17], v[10:11], v[16:17]
	global_load_b32 v1, v[14:15], off
	global_load_b32 v18, v[16:17], off
	s_wait_xcnt 0x1
	v_add_nc_u64_e32 v[14:15], 1, v[12:13]
	s_wait_loadcnt 0x0
	v_cmp_lt_i32_e32 vcc_lo, v18, v1
	v_dual_cndmask_b32 v9, v9, v13 :: v_dual_cndmask_b32 v8, v8, v12
	s_delay_alu instid0(VALU_DEP_3) | instskip(NEXT) | instid1(VALU_DEP_1)
	v_dual_cndmask_b32 v3, v15, v3 :: v_dual_cndmask_b32 v2, v14, v2
	v_cmp_ge_i64_e32 vcc_lo, v[2:3], v[8:9]
	s_or_b32 s13, vcc_lo, s13
	s_delay_alu instid0(SALU_CYCLE_1)
	s_and_not1_b32 exec_lo, exec_lo, s13
	s_cbranch_execnz .LBB26_6
; %bb.7:
	s_or_b32 exec_lo, exec_lo, s13
.LBB26_8:
	s_delay_alu instid0(SALU_CYCLE_1) | instskip(SKIP_3) | instid1(VALU_DEP_2)
	s_or_b32 exec_lo, exec_lo, s0
	v_sub_nc_u64_e32 v[12:13], v[4:5], v[2:3]
	v_mov_b64_e32 v[8:9], 0
	s_mov_b32 s13, exec_lo
	v_cmpx_gt_i64_e64 s[6:7], v[12:13]
	s_cbranch_execz .LBB26_38
; %bb.9:
	v_lshl_add_u64 v[10:11], v[12:13], 2, s[2:3]
	v_mov_b64_e32 v[8:9], 0
	v_mov_b64_e32 v[14:15], 0
	s_mov_b32 s0, exec_lo
	global_load_b32 v1, v[10:11], off
	s_wait_xcnt 0x0
	v_cmpx_lt_i64_e32 0, v[2:3]
	s_cbranch_execnz .LBB26_14
; %bb.10:
	s_or_b32 exec_lo, exec_lo, s0
	s_delay_alu instid0(SALU_CYCLE_1)
	s_mov_b32 s0, exec_lo
	v_cmpx_lt_u64_e64 v[8:9], v[14:15]
	s_cbranch_execnz .LBB26_15
.LBB26_11:
	s_or_b32 exec_lo, exec_lo, s0
	s_delay_alu instid0(SALU_CYCLE_1)
	s_mov_b32 s0, exec_lo
	v_cmpx_lt_u64_e64 v[8:9], v[14:15]
	s_cbranch_execnz .LBB26_16
.LBB26_12:
	s_or_b32 exec_lo, exec_lo, s0
	s_delay_alu instid0(SALU_CYCLE_1)
	s_mov_b32 s0, exec_lo
	v_cmpx_lt_u64_e64 v[8:9], v[14:15]
	s_cbranch_execnz .LBB26_17
.LBB26_13:
	s_or_b32 exec_lo, exec_lo, s0
	s_delay_alu instid0(SALU_CYCLE_1)
	s_mov_b32 s0, exec_lo
	v_cmpx_lt_u64_e64 v[8:9], v[14:15]
	s_cbranch_execnz .LBB26_18
	s_branch .LBB26_21
.LBB26_14:
	v_mul_u64_e32 v[8:9], 0x1ff, v[2:3]
	s_delay_alu instid0(VALU_DEP_1) | instskip(NEXT) | instid1(VALU_DEP_1)
	v_lshrrev_b64 v[14:15], 9, v[8:9]
	v_lshl_add_u64 v[8:9], v[14:15], 2, s[10:11]
	global_load_b32 v16, v[8:9], off
	s_wait_xcnt 0x0
	v_add_nc_u64_e32 v[8:9], 1, v[14:15]
	s_wait_loadcnt 0x0
	v_cmp_lt_i32_e32 vcc_lo, v16, v1
	s_delay_alu instid0(VALU_DEP_2) | instskip(SKIP_2) | instid1(SALU_CYCLE_1)
	v_dual_cndmask_b32 v9, 0, v9 :: v_dual_cndmask_b32 v8, 0, v8
	v_dual_cndmask_b32 v15, v15, v3 :: v_dual_cndmask_b32 v14, v14, v2
	s_or_b32 exec_lo, exec_lo, s0
	s_mov_b32 s0, exec_lo
	s_delay_alu instid0(VALU_DEP_1)
	v_cmpx_lt_u64_e64 v[8:9], v[14:15]
	s_cbranch_execz .LBB26_11
.LBB26_15:
	v_mad_nc_u64_u32 v[16:17], 0x7f, v14, v[8:9]
	s_delay_alu instid0(VALU_DEP_1) | instskip(NEXT) | instid1(VALU_DEP_1)
	v_mad_u32 v17, 0x7f, v15, v17
	v_lshrrev_b64 v[16:17], 7, v[16:17]
	s_delay_alu instid0(VALU_DEP_1)
	v_lshl_add_u64 v[18:19], v[16:17], 2, s[10:11]
	global_load_b32 v20, v[18:19], off
	s_wait_xcnt 0x0
	v_add_nc_u64_e32 v[18:19], 1, v[16:17]
	s_wait_loadcnt 0x0
	v_cmp_lt_i32_e32 vcc_lo, v20, v1
	s_delay_alu instid0(VALU_DEP_2) | instskip(SKIP_2) | instid1(SALU_CYCLE_1)
	v_dual_cndmask_b32 v9, v9, v19 :: v_dual_cndmask_b32 v8, v8, v18
	v_dual_cndmask_b32 v15, v17, v15 :: v_dual_cndmask_b32 v14, v16, v14
	s_or_b32 exec_lo, exec_lo, s0
	s_mov_b32 s0, exec_lo
	s_delay_alu instid0(VALU_DEP_1)
	v_cmpx_lt_u64_e64 v[8:9], v[14:15]
	s_cbranch_execz .LBB26_12
.LBB26_16:
	v_mad_nc_u64_u32 v[16:17], v14, 31, v[8:9]
	s_delay_alu instid0(VALU_DEP_1) | instskip(NEXT) | instid1(VALU_DEP_1)
	v_mad_u32 v17, v15, 31, v17
	v_lshrrev_b64 v[16:17], 5, v[16:17]
	s_delay_alu instid0(VALU_DEP_1)
	v_lshl_add_u64 v[18:19], v[16:17], 2, s[10:11]
	global_load_b32 v20, v[18:19], off
	s_wait_xcnt 0x0
	v_add_nc_u64_e32 v[18:19], 1, v[16:17]
	s_wait_loadcnt 0x0
	v_cmp_lt_i32_e32 vcc_lo, v20, v1
	s_delay_alu instid0(VALU_DEP_2) | instskip(SKIP_2) | instid1(SALU_CYCLE_1)
	v_dual_cndmask_b32 v9, v9, v19 :: v_dual_cndmask_b32 v8, v8, v18
	v_dual_cndmask_b32 v15, v17, v15 :: v_dual_cndmask_b32 v14, v16, v14
	s_or_b32 exec_lo, exec_lo, s0
	s_mov_b32 s0, exec_lo
	s_delay_alu instid0(VALU_DEP_1)
	v_cmpx_lt_u64_e64 v[8:9], v[14:15]
	s_cbranch_execz .LBB26_13
.LBB26_17:
	v_mad_nc_u64_u32 v[16:17], v14, 15, v[8:9]
	s_delay_alu instid0(VALU_DEP_1) | instskip(NEXT) | instid1(VALU_DEP_1)
	v_mad_u32 v17, v15, 15, v17
	v_lshrrev_b64 v[16:17], 4, v[16:17]
	s_delay_alu instid0(VALU_DEP_1)
	v_lshl_add_u64 v[18:19], v[16:17], 2, s[10:11]
	global_load_b32 v20, v[18:19], off
	s_wait_xcnt 0x0
	v_add_nc_u64_e32 v[18:19], 1, v[16:17]
	s_wait_loadcnt 0x0
	v_cmp_lt_i32_e32 vcc_lo, v20, v1
	s_delay_alu instid0(VALU_DEP_2) | instskip(SKIP_2) | instid1(SALU_CYCLE_1)
	v_dual_cndmask_b32 v9, v9, v19 :: v_dual_cndmask_b32 v8, v8, v18
	v_dual_cndmask_b32 v15, v17, v15 :: v_dual_cndmask_b32 v14, v16, v14
	s_or_b32 exec_lo, exec_lo, s0
	s_mov_b32 s0, exec_lo
	s_delay_alu instid0(VALU_DEP_1)
	v_cmpx_lt_u64_e64 v[8:9], v[14:15]
	s_cbranch_execz .LBB26_21
.LBB26_18:
	s_mov_b32 s14, 0
.LBB26_19:                              ; =>This Inner Loop Header: Depth=1
	v_add_nc_u64_e32 v[16:17], v[8:9], v[14:15]
	s_delay_alu instid0(VALU_DEP_1) | instskip(NEXT) | instid1(VALU_DEP_1)
	v_lshrrev_b64 v[16:17], 1, v[16:17]
	v_lshl_add_u64 v[18:19], v[16:17], 2, s[10:11]
	global_load_b32 v20, v[18:19], off
	s_wait_xcnt 0x0
	v_add_nc_u64_e32 v[18:19], 1, v[16:17]
	s_wait_loadcnt 0x0
	v_cmp_lt_i32_e32 vcc_lo, v20, v1
	s_delay_alu instid0(VALU_DEP_2) | instskip(SKIP_1) | instid1(VALU_DEP_1)
	v_dual_cndmask_b32 v9, v9, v19 :: v_dual_cndmask_b32 v8, v8, v18
	v_dual_cndmask_b32 v15, v17, v15 :: v_dual_cndmask_b32 v14, v16, v14
	v_cmp_ge_i64_e32 vcc_lo, v[8:9], v[14:15]
	s_or_b32 s14, vcc_lo, s14
	s_delay_alu instid0(SALU_CYCLE_1)
	s_and_not1_b32 exec_lo, exec_lo, s14
	s_cbranch_execnz .LBB26_19
; %bb.20:
	s_or_b32 exec_lo, exec_lo, s14
.LBB26_21:
	s_delay_alu instid0(SALU_CYCLE_1)
	s_or_b32 exec_lo, exec_lo, s0
	v_mov_b64_e32 v[14:15], 0
	v_mov_b64_e32 v[16:17], v[12:13]
	s_mov_b32 s0, exec_lo
	v_cmpx_lt_i64_e32 0, v[12:13]
	s_cbranch_execnz .LBB26_26
; %bb.22:
	s_or_b32 exec_lo, exec_lo, s0
	s_delay_alu instid0(SALU_CYCLE_1) | instskip(NEXT) | instid1(VALU_DEP_2)
	s_mov_b32 s0, exec_lo
	v_cmpx_lt_i64_e64 v[14:15], v[16:17]
	s_cbranch_execnz .LBB26_27
.LBB26_23:
	s_or_b32 exec_lo, exec_lo, s0
	s_delay_alu instid0(SALU_CYCLE_1)
	s_mov_b32 s0, exec_lo
	v_cmpx_lt_i64_e64 v[14:15], v[16:17]
	s_cbranch_execnz .LBB26_28
.LBB26_24:
	s_or_b32 exec_lo, exec_lo, s0
	s_delay_alu instid0(SALU_CYCLE_1)
	s_mov_b32 s0, exec_lo
	v_cmpx_lt_i64_e64 v[14:15], v[16:17]
	s_cbranch_execnz .LBB26_29
.LBB26_25:
	s_or_b32 exec_lo, exec_lo, s0
	s_delay_alu instid0(SALU_CYCLE_1)
	s_mov_b32 s0, exec_lo
	v_cmpx_lt_i64_e64 v[14:15], v[16:17]
	s_cbranch_execnz .LBB26_30
	s_branch .LBB26_33
.LBB26_26:
	v_mul_u64_e32 v[14:15], 0x1ff, v[12:13]
	s_delay_alu instid0(VALU_DEP_1) | instskip(NEXT) | instid1(VALU_DEP_1)
	v_lshrrev_b64 v[16:17], 9, v[14:15]
	v_lshl_add_u64 v[14:15], v[16:17], 2, s[2:3]
	global_load_b32 v18, v[14:15], off
	s_wait_xcnt 0x0
	v_add_nc_u64_e32 v[14:15], 1, v[16:17]
	s_wait_loadcnt 0x0
	v_cmp_lt_i32_e32 vcc_lo, v18, v1
	s_delay_alu instid0(VALU_DEP_2) | instskip(SKIP_2) | instid1(SALU_CYCLE_1)
	v_dual_cndmask_b32 v15, 0, v15 :: v_dual_cndmask_b32 v14, 0, v14
	v_dual_cndmask_b32 v17, v17, v13 :: v_dual_cndmask_b32 v16, v16, v12
	s_or_b32 exec_lo, exec_lo, s0
	s_mov_b32 s0, exec_lo
	s_delay_alu instid0(VALU_DEP_1)
	v_cmpx_lt_i64_e64 v[14:15], v[16:17]
	s_cbranch_execz .LBB26_23
.LBB26_27:
	v_mad_nc_u64_u32 v[18:19], 0x7f, v16, v[14:15]
	s_delay_alu instid0(VALU_DEP_1) | instskip(NEXT) | instid1(VALU_DEP_1)
	v_mad_u32 v19, 0x7f, v17, v19
	v_lshrrev_b64 v[18:19], 7, v[18:19]
	s_delay_alu instid0(VALU_DEP_1)
	v_lshl_add_u64 v[20:21], v[18:19], 2, s[2:3]
	global_load_b32 v22, v[20:21], off
	s_wait_xcnt 0x0
	v_add_nc_u64_e32 v[20:21], 1, v[18:19]
	s_wait_loadcnt 0x0
	v_cmp_lt_i32_e32 vcc_lo, v22, v1
	s_delay_alu instid0(VALU_DEP_2) | instskip(SKIP_2) | instid1(SALU_CYCLE_1)
	v_dual_cndmask_b32 v15, v15, v21 :: v_dual_cndmask_b32 v14, v14, v20
	v_dual_cndmask_b32 v17, v19, v17 :: v_dual_cndmask_b32 v16, v18, v16
	s_or_b32 exec_lo, exec_lo, s0
	s_mov_b32 s0, exec_lo
	s_delay_alu instid0(VALU_DEP_1)
	v_cmpx_lt_i64_e64 v[14:15], v[16:17]
	s_cbranch_execz .LBB26_24
.LBB26_28:
	v_mad_nc_u64_u32 v[18:19], v16, 31, v[14:15]
	s_delay_alu instid0(VALU_DEP_1) | instskip(NEXT) | instid1(VALU_DEP_1)
	v_mad_u32 v19, v17, 31, v19
	v_lshrrev_b64 v[18:19], 5, v[18:19]
	s_delay_alu instid0(VALU_DEP_1)
	v_lshl_add_u64 v[20:21], v[18:19], 2, s[2:3]
	global_load_b32 v22, v[20:21], off
	s_wait_xcnt 0x0
	v_add_nc_u64_e32 v[20:21], 1, v[18:19]
	s_wait_loadcnt 0x0
	v_cmp_lt_i32_e32 vcc_lo, v22, v1
	s_delay_alu instid0(VALU_DEP_2) | instskip(SKIP_2) | instid1(SALU_CYCLE_1)
	v_dual_cndmask_b32 v15, v15, v21 :: v_dual_cndmask_b32 v14, v14, v20
	v_dual_cndmask_b32 v17, v19, v17 :: v_dual_cndmask_b32 v16, v18, v16
	s_or_b32 exec_lo, exec_lo, s0
	s_mov_b32 s0, exec_lo
	s_delay_alu instid0(VALU_DEP_1)
	v_cmpx_lt_i64_e64 v[14:15], v[16:17]
	s_cbranch_execz .LBB26_25
.LBB26_29:
	v_mad_nc_u64_u32 v[18:19], v16, 15, v[14:15]
	s_delay_alu instid0(VALU_DEP_1) | instskip(NEXT) | instid1(VALU_DEP_1)
	v_mad_u32 v19, v17, 15, v19
	v_lshrrev_b64 v[18:19], 4, v[18:19]
	s_delay_alu instid0(VALU_DEP_1)
	v_lshl_add_u64 v[20:21], v[18:19], 2, s[2:3]
	global_load_b32 v22, v[20:21], off
	s_wait_xcnt 0x0
	v_add_nc_u64_e32 v[20:21], 1, v[18:19]
	s_wait_loadcnt 0x0
	v_cmp_lt_i32_e32 vcc_lo, v22, v1
	s_delay_alu instid0(VALU_DEP_2) | instskip(SKIP_2) | instid1(SALU_CYCLE_1)
	v_dual_cndmask_b32 v15, v15, v21 :: v_dual_cndmask_b32 v14, v14, v20
	v_dual_cndmask_b32 v17, v19, v17 :: v_dual_cndmask_b32 v16, v18, v16
	s_or_b32 exec_lo, exec_lo, s0
	s_mov_b32 s0, exec_lo
	s_delay_alu instid0(VALU_DEP_1)
	v_cmpx_lt_i64_e64 v[14:15], v[16:17]
	s_cbranch_execz .LBB26_33
.LBB26_30:
	s_mov_b32 s14, 0
.LBB26_31:                              ; =>This Inner Loop Header: Depth=1
	v_add_nc_u64_e32 v[18:19], v[14:15], v[16:17]
	s_delay_alu instid0(VALU_DEP_1) | instskip(NEXT) | instid1(VALU_DEP_1)
	v_lshrrev_b64 v[18:19], 1, v[18:19]
	v_lshl_add_u64 v[20:21], v[18:19], 2, s[2:3]
	global_load_b32 v22, v[20:21], off
	s_wait_xcnt 0x0
	v_add_nc_u64_e32 v[20:21], 1, v[18:19]
	s_wait_loadcnt 0x0
	v_cmp_lt_i32_e32 vcc_lo, v22, v1
	s_delay_alu instid0(VALU_DEP_2) | instskip(SKIP_1) | instid1(VALU_DEP_1)
	v_dual_cndmask_b32 v15, v15, v21 :: v_dual_cndmask_b32 v14, v14, v20
	v_dual_cndmask_b32 v17, v19, v17 :: v_dual_cndmask_b32 v16, v18, v16
	v_cmp_ge_i64_e32 vcc_lo, v[14:15], v[16:17]
	s_or_b32 s14, vcc_lo, s14
	s_delay_alu instid0(SALU_CYCLE_1)
	s_and_not1_b32 exec_lo, exec_lo, s14
	s_cbranch_execnz .LBB26_31
; %bb.32:
	s_or_b32 exec_lo, exec_lo, s14
.LBB26_33:
	s_delay_alu instid0(SALU_CYCLE_1) | instskip(SKIP_3) | instid1(VALU_DEP_1)
	s_or_b32 exec_lo, exec_lo, s0
	v_sub_nc_u64_e32 v[2:3], v[2:3], v[8:9]
	v_sub_nc_u64_e32 v[18:19], v[12:13], v[14:15]
	s_mov_b32 s0, exec_lo
	v_add_nc_u64_e32 v[16:17], v[18:19], v[2:3]
	s_delay_alu instid0(VALU_DEP_1) | instskip(NEXT) | instid1(VALU_DEP_1)
	v_ashrrev_i64 v[2:3], 1, v[16:17]
	v_max_i64 v[2:3], v[2:3], v[18:19]
	s_delay_alu instid0(VALU_DEP_1) | instskip(NEXT) | instid1(VALU_DEP_1)
	v_add_nc_u64_e32 v[14:15], v[14:15], v[2:3]
	v_add_nc_u64_e32 v[14:15], 1, v[14:15]
	s_delay_alu instid0(VALU_DEP_1) | instskip(NEXT) | instid1(VALU_DEP_1)
	v_min_i64 v[14:15], v[14:15], s[6:7]
	v_sub_nc_u64_e32 v[14:15], v[14:15], v[12:13]
	v_mov_b64_e32 v[12:13], 0
	s_delay_alu instid0(VALU_DEP_2)
	v_cmpx_lt_i64_e32 0, v[14:15]
	s_cbranch_execz .LBB26_37
; %bb.34:
	v_mov_b64_e32 v[12:13], 0
	s_mov_b32 s14, 0
.LBB26_35:                              ; =>This Inner Loop Header: Depth=1
	s_delay_alu instid0(VALU_DEP_1) | instskip(NEXT) | instid1(VALU_DEP_1)
	v_add_nc_u64_e32 v[20:21], v[12:13], v[14:15]
	v_lshrrev_b64 v[20:21], 1, v[20:21]
	s_delay_alu instid0(VALU_DEP_1)
	v_lshl_add_u64 v[22:23], v[20:21], 2, v[10:11]
	global_load_b32 v24, v[22:23], off
	s_wait_xcnt 0x0
	v_add_nc_u64_e32 v[22:23], 1, v[20:21]
	s_wait_loadcnt 0x0
	v_cmp_lt_i32_e32 vcc_lo, v1, v24
	s_delay_alu instid0(VALU_DEP_2) | instskip(SKIP_1) | instid1(VALU_DEP_1)
	v_dual_cndmask_b32 v13, v23, v13 :: v_dual_cndmask_b32 v12, v22, v12
	v_dual_cndmask_b32 v15, v15, v21 :: v_dual_cndmask_b32 v14, v14, v20
	v_cmp_ge_i64_e32 vcc_lo, v[12:13], v[14:15]
	s_or_b32 s14, vcc_lo, s14
	s_delay_alu instid0(SALU_CYCLE_1)
	s_and_not1_b32 exec_lo, exec_lo, s14
	s_cbranch_execnz .LBB26_35
; %bb.36:
	s_or_b32 exec_lo, exec_lo, s14
	v_ashrrev_i32_e32 v13, 31, v12
.LBB26_37:
	s_or_b32 exec_lo, exec_lo, s0
	s_delay_alu instid0(VALU_DEP_1) | instskip(SKIP_1) | instid1(VALU_DEP_1)
	v_add_nc_u64_e32 v[10:11], v[12:13], v[18:19]
	s_mov_b32 s14, 0
	v_min_i64 v[12:13], v[10:11], v[2:3]
	v_cmp_lt_i64_e32 vcc_lo, v[2:3], v[10:11]
	s_delay_alu instid0(VALU_DEP_2) | instskip(SKIP_1) | instid1(VALU_DEP_2)
	v_sub_nc_u64_e32 v[14:15], v[16:17], v[12:13]
	v_add_nc_u64_e32 v[12:13], 1, v[12:13]
	v_add_nc_u64_e32 v[2:3], v[14:15], v[8:9]
	s_delay_alu instid0(VALU_DEP_2) | instskip(SKIP_2) | instid1(SALU_CYCLE_1)
	v_cmp_eq_u64_e64 s0, v[14:15], v[12:13]
	v_mov_b32_e32 v9, s14
	s_and_b32 s0, s0, vcc_lo
	v_cndmask_b32_e64 v8, 0, 1, s0
.LBB26_38:
	s_or_b32 exec_lo, exec_lo, s13
	s_delay_alu instid0(VALU_DEP_1) | instskip(SKIP_1) | instid1(VALU_DEP_2)
	v_add_nc_u64_e32 v[4:5], v[8:9], v[4:5]
	v_lshl_add_u64 v[6:7], v[6:7], 4, s[8:9]
	v_sub_nc_u64_e32 v[4:5], v[4:5], v[2:3]
	global_store_b128 v[6:7], v[2:5], off
.LBB26_39:
	s_wait_xcnt 0x0
	s_or_b32 exec_lo, exec_lo, s12
	s_cbranch_execnz .LBB26_2
.LBB26_40:
	v_dual_mov_b32 v5, 0 :: v_dual_add_nc_u32 v4, s1, v0
	s_add_nc_u64 s[0:1], s[6:7], s[4:5]
	s_wait_loadcnt 0x0
	s_delay_alu instid0(VALU_DEP_1) | instskip(NEXT) | instid1(VALU_DEP_1)
	v_mul_u64_e32 v[0:1], 0xfff, v[4:5]
	v_min_i64 v[2:3], s[0:1], v[0:1]
	s_mov_b32 s0, exec_lo
	s_delay_alu instid0(VALU_DEP_1) | instskip(SKIP_1) | instid1(VALU_DEP_2)
	v_sub_nc_u64_e64 v[0:1], v[2:3], s[6:7]
	v_min_i64 v[6:7], s[4:5], v[2:3]
	v_max_i64 v[0:1], v[0:1], 0
	s_delay_alu instid0(VALU_DEP_1)
	v_cmpx_lt_i64_e64 v[0:1], v[6:7]
	s_cbranch_execz .LBB26_44
; %bb.41:
	v_lshl_add_u64 v[8:9], v[2:3], 2, s[2:3]
	s_mov_b32 s1, 0
.LBB26_42:                              ; =>This Inner Loop Header: Depth=1
	v_add_nc_u64_e32 v[10:11], v[6:7], v[0:1]
	s_delay_alu instid0(VALU_DEP_1) | instskip(NEXT) | instid1(VALU_DEP_1)
	v_lshrrev_b64 v[10:11], 1, v[10:11]
	v_lshlrev_b64_e32 v[12:13], 2, v[10:11]
	s_delay_alu instid0(VALU_DEP_1) | instskip(NEXT) | instid1(VALU_DEP_2)
	v_xor_b32_e32 v15, -1, v13
	v_xor_b32_e32 v14, -4, v12
	v_add_nc_u64_e32 v[12:13], s[10:11], v[12:13]
	s_delay_alu instid0(VALU_DEP_2)
	v_add_nc_u64_e32 v[14:15], v[8:9], v[14:15]
	global_load_b32 v16, v[12:13], off
	global_load_b32 v17, v[14:15], off
	s_wait_xcnt 0x1
	v_add_nc_u64_e32 v[12:13], 1, v[10:11]
	s_wait_loadcnt 0x0
	v_cmp_lt_i32_e32 vcc_lo, v17, v16
	v_dual_cndmask_b32 v7, v7, v11 :: v_dual_cndmask_b32 v6, v6, v10
	s_delay_alu instid0(VALU_DEP_3) | instskip(NEXT) | instid1(VALU_DEP_1)
	v_dual_cndmask_b32 v1, v13, v1 :: v_dual_cndmask_b32 v0, v12, v0
	v_cmp_ge_i64_e32 vcc_lo, v[0:1], v[6:7]
	s_or_b32 s1, vcc_lo, s1
	s_wait_xcnt 0x0
	s_and_not1_b32 exec_lo, exec_lo, s1
	s_cbranch_execnz .LBB26_42
; %bb.43:
	s_or_b32 exec_lo, exec_lo, s1
.LBB26_44:
	s_delay_alu instid0(SALU_CYCLE_1) | instskip(SKIP_3) | instid1(VALU_DEP_2)
	s_or_b32 exec_lo, exec_lo, s0
	v_sub_nc_u64_e32 v[10:11], v[2:3], v[0:1]
	v_mov_b64_e32 v[6:7], 0
	s_mov_b32 s1, exec_lo
	v_cmpx_gt_i64_e64 s[6:7], v[10:11]
	s_cbranch_execz .LBB26_74
; %bb.45:
	v_lshl_add_u64 v[8:9], v[10:11], 2, s[2:3]
	v_mov_b64_e32 v[6:7], 0
	v_mov_b64_e32 v[12:13], 0
	s_mov_b32 s0, exec_lo
	global_load_b32 v18, v[8:9], off
	s_wait_xcnt 0x0
	v_cmpx_lt_i64_e32 0, v[0:1]
	s_cbranch_execnz .LBB26_50
; %bb.46:
	s_or_b32 exec_lo, exec_lo, s0
	s_delay_alu instid0(SALU_CYCLE_1)
	s_mov_b32 s0, exec_lo
	v_cmpx_lt_u64_e64 v[6:7], v[12:13]
	s_cbranch_execnz .LBB26_51
.LBB26_47:
	s_or_b32 exec_lo, exec_lo, s0
	s_delay_alu instid0(SALU_CYCLE_1)
	s_mov_b32 s0, exec_lo
	v_cmpx_lt_u64_e64 v[6:7], v[12:13]
	s_cbranch_execnz .LBB26_52
.LBB26_48:
	s_or_b32 exec_lo, exec_lo, s0
	s_delay_alu instid0(SALU_CYCLE_1)
	s_mov_b32 s0, exec_lo
	v_cmpx_lt_u64_e64 v[6:7], v[12:13]
	s_cbranch_execnz .LBB26_53
.LBB26_49:
	s_or_b32 exec_lo, exec_lo, s0
	s_delay_alu instid0(SALU_CYCLE_1)
	s_mov_b32 s0, exec_lo
	v_cmpx_lt_u64_e64 v[6:7], v[12:13]
	s_cbranch_execnz .LBB26_54
	s_branch .LBB26_57
.LBB26_50:
	v_mul_u64_e32 v[6:7], 0x1ff, v[0:1]
	s_delay_alu instid0(VALU_DEP_1) | instskip(NEXT) | instid1(VALU_DEP_1)
	v_lshrrev_b64 v[12:13], 9, v[6:7]
	v_lshl_add_u64 v[6:7], v[12:13], 2, s[10:11]
	global_load_b32 v14, v[6:7], off
	s_wait_xcnt 0x0
	v_add_nc_u64_e32 v[6:7], 1, v[12:13]
	s_wait_loadcnt 0x0
	v_cmp_lt_i32_e32 vcc_lo, v14, v18
	s_delay_alu instid0(VALU_DEP_2) | instskip(SKIP_2) | instid1(SALU_CYCLE_1)
	v_dual_cndmask_b32 v7, 0, v7 :: v_dual_cndmask_b32 v6, 0, v6
	v_dual_cndmask_b32 v13, v13, v1 :: v_dual_cndmask_b32 v12, v12, v0
	s_or_b32 exec_lo, exec_lo, s0
	s_mov_b32 s0, exec_lo
	s_delay_alu instid0(VALU_DEP_1)
	v_cmpx_lt_u64_e64 v[6:7], v[12:13]
	s_cbranch_execz .LBB26_47
.LBB26_51:
	v_mad_nc_u64_u32 v[14:15], 0x7f, v12, v[6:7]
	s_delay_alu instid0(VALU_DEP_1) | instskip(NEXT) | instid1(VALU_DEP_1)
	v_mad_u32 v15, 0x7f, v13, v15
	v_lshrrev_b64 v[14:15], 7, v[14:15]
	s_delay_alu instid0(VALU_DEP_1)
	v_lshl_add_u64 v[16:17], v[14:15], 2, s[10:11]
	global_load_b32 v19, v[16:17], off
	s_wait_xcnt 0x0
	v_add_nc_u64_e32 v[16:17], 1, v[14:15]
	s_wait_loadcnt 0x0
	v_cmp_lt_i32_e32 vcc_lo, v19, v18
	s_delay_alu instid0(VALU_DEP_2) | instskip(SKIP_2) | instid1(SALU_CYCLE_1)
	v_dual_cndmask_b32 v7, v7, v17 :: v_dual_cndmask_b32 v6, v6, v16
	v_dual_cndmask_b32 v13, v15, v13 :: v_dual_cndmask_b32 v12, v14, v12
	s_or_b32 exec_lo, exec_lo, s0
	s_mov_b32 s0, exec_lo
	s_delay_alu instid0(VALU_DEP_1)
	v_cmpx_lt_u64_e64 v[6:7], v[12:13]
	s_cbranch_execz .LBB26_48
.LBB26_52:
	v_mad_nc_u64_u32 v[14:15], v12, 31, v[6:7]
	s_delay_alu instid0(VALU_DEP_1) | instskip(NEXT) | instid1(VALU_DEP_1)
	v_mad_u32 v15, v13, 31, v15
	v_lshrrev_b64 v[14:15], 5, v[14:15]
	s_delay_alu instid0(VALU_DEP_1)
	v_lshl_add_u64 v[16:17], v[14:15], 2, s[10:11]
	global_load_b32 v19, v[16:17], off
	s_wait_xcnt 0x0
	v_add_nc_u64_e32 v[16:17], 1, v[14:15]
	s_wait_loadcnt 0x0
	v_cmp_lt_i32_e32 vcc_lo, v19, v18
	s_delay_alu instid0(VALU_DEP_2) | instskip(SKIP_2) | instid1(SALU_CYCLE_1)
	v_dual_cndmask_b32 v7, v7, v17 :: v_dual_cndmask_b32 v6, v6, v16
	v_dual_cndmask_b32 v13, v15, v13 :: v_dual_cndmask_b32 v12, v14, v12
	s_or_b32 exec_lo, exec_lo, s0
	s_mov_b32 s0, exec_lo
	s_delay_alu instid0(VALU_DEP_1)
	v_cmpx_lt_u64_e64 v[6:7], v[12:13]
	s_cbranch_execz .LBB26_49
.LBB26_53:
	v_mad_nc_u64_u32 v[14:15], v12, 15, v[6:7]
	s_delay_alu instid0(VALU_DEP_1) | instskip(NEXT) | instid1(VALU_DEP_1)
	v_mad_u32 v15, v13, 15, v15
	v_lshrrev_b64 v[14:15], 4, v[14:15]
	s_delay_alu instid0(VALU_DEP_1)
	v_lshl_add_u64 v[16:17], v[14:15], 2, s[10:11]
	global_load_b32 v19, v[16:17], off
	s_wait_xcnt 0x0
	v_add_nc_u64_e32 v[16:17], 1, v[14:15]
	s_wait_loadcnt 0x0
	v_cmp_lt_i32_e32 vcc_lo, v19, v18
	s_delay_alu instid0(VALU_DEP_2) | instskip(SKIP_2) | instid1(SALU_CYCLE_1)
	v_dual_cndmask_b32 v7, v7, v17 :: v_dual_cndmask_b32 v6, v6, v16
	v_dual_cndmask_b32 v13, v15, v13 :: v_dual_cndmask_b32 v12, v14, v12
	s_or_b32 exec_lo, exec_lo, s0
	s_mov_b32 s0, exec_lo
	s_delay_alu instid0(VALU_DEP_1)
	v_cmpx_lt_u64_e64 v[6:7], v[12:13]
	s_cbranch_execz .LBB26_57
.LBB26_54:
	s_mov_b32 s4, 0
.LBB26_55:                              ; =>This Inner Loop Header: Depth=1
	v_add_nc_u64_e32 v[14:15], v[6:7], v[12:13]
	s_delay_alu instid0(VALU_DEP_1) | instskip(NEXT) | instid1(VALU_DEP_1)
	v_lshrrev_b64 v[14:15], 1, v[14:15]
	v_lshl_add_u64 v[16:17], v[14:15], 2, s[10:11]
	global_load_b32 v19, v[16:17], off
	s_wait_xcnt 0x0
	v_add_nc_u64_e32 v[16:17], 1, v[14:15]
	s_wait_loadcnt 0x0
	v_cmp_lt_i32_e32 vcc_lo, v19, v18
	s_delay_alu instid0(VALU_DEP_2) | instskip(SKIP_1) | instid1(VALU_DEP_1)
	v_dual_cndmask_b32 v7, v7, v17 :: v_dual_cndmask_b32 v6, v6, v16
	v_dual_cndmask_b32 v13, v15, v13 :: v_dual_cndmask_b32 v12, v14, v12
	v_cmp_ge_i64_e32 vcc_lo, v[6:7], v[12:13]
	s_or_b32 s4, vcc_lo, s4
	s_delay_alu instid0(SALU_CYCLE_1)
	s_and_not1_b32 exec_lo, exec_lo, s4
	s_cbranch_execnz .LBB26_55
; %bb.56:
	s_or_b32 exec_lo, exec_lo, s4
.LBB26_57:
	s_delay_alu instid0(SALU_CYCLE_1)
	s_or_b32 exec_lo, exec_lo, s0
	v_mov_b64_e32 v[12:13], 0
	v_mov_b64_e32 v[14:15], v[10:11]
	s_mov_b32 s0, exec_lo
	v_cmpx_lt_i64_e32 0, v[10:11]
	s_cbranch_execnz .LBB26_62
; %bb.58:
	s_or_b32 exec_lo, exec_lo, s0
	s_delay_alu instid0(SALU_CYCLE_1) | instskip(NEXT) | instid1(VALU_DEP_2)
	s_mov_b32 s0, exec_lo
	v_cmpx_lt_i64_e64 v[12:13], v[14:15]
	s_cbranch_execnz .LBB26_63
.LBB26_59:
	s_or_b32 exec_lo, exec_lo, s0
	s_delay_alu instid0(SALU_CYCLE_1)
	s_mov_b32 s0, exec_lo
	v_cmpx_lt_i64_e64 v[12:13], v[14:15]
	s_cbranch_execnz .LBB26_64
.LBB26_60:
	s_or_b32 exec_lo, exec_lo, s0
	s_delay_alu instid0(SALU_CYCLE_1)
	s_mov_b32 s0, exec_lo
	v_cmpx_lt_i64_e64 v[12:13], v[14:15]
	s_cbranch_execnz .LBB26_65
.LBB26_61:
	s_or_b32 exec_lo, exec_lo, s0
	s_delay_alu instid0(SALU_CYCLE_1)
	s_mov_b32 s0, exec_lo
	v_cmpx_lt_i64_e64 v[12:13], v[14:15]
	s_cbranch_execnz .LBB26_66
	s_branch .LBB26_69
.LBB26_62:
	v_mul_u64_e32 v[12:13], 0x1ff, v[10:11]
	s_delay_alu instid0(VALU_DEP_1) | instskip(NEXT) | instid1(VALU_DEP_1)
	v_lshrrev_b64 v[14:15], 9, v[12:13]
	v_lshl_add_u64 v[12:13], v[14:15], 2, s[2:3]
	global_load_b32 v16, v[12:13], off
	s_wait_xcnt 0x0
	v_add_nc_u64_e32 v[12:13], 1, v[14:15]
	s_wait_loadcnt 0x0
	v_cmp_lt_i32_e32 vcc_lo, v16, v18
	s_delay_alu instid0(VALU_DEP_2) | instskip(SKIP_2) | instid1(SALU_CYCLE_1)
	v_dual_cndmask_b32 v13, 0, v13 :: v_dual_cndmask_b32 v12, 0, v12
	v_dual_cndmask_b32 v15, v15, v11 :: v_dual_cndmask_b32 v14, v14, v10
	s_or_b32 exec_lo, exec_lo, s0
	s_mov_b32 s0, exec_lo
	s_delay_alu instid0(VALU_DEP_1)
	v_cmpx_lt_i64_e64 v[12:13], v[14:15]
	s_cbranch_execz .LBB26_59
.LBB26_63:
	v_mad_nc_u64_u32 v[16:17], 0x7f, v14, v[12:13]
	s_delay_alu instid0(VALU_DEP_1) | instskip(NEXT) | instid1(VALU_DEP_1)
	v_mad_u32 v17, 0x7f, v15, v17
	v_lshrrev_b64 v[16:17], 7, v[16:17]
	s_delay_alu instid0(VALU_DEP_1)
	v_lshl_add_u64 v[20:21], v[16:17], 2, s[2:3]
	global_load_b32 v19, v[20:21], off
	s_wait_xcnt 0x0
	v_add_nc_u64_e32 v[20:21], 1, v[16:17]
	s_wait_loadcnt 0x0
	v_cmp_lt_i32_e32 vcc_lo, v19, v18
	s_delay_alu instid0(VALU_DEP_2) | instskip(SKIP_2) | instid1(SALU_CYCLE_1)
	v_dual_cndmask_b32 v13, v13, v21 :: v_dual_cndmask_b32 v12, v12, v20
	v_dual_cndmask_b32 v15, v17, v15 :: v_dual_cndmask_b32 v14, v16, v14
	s_or_b32 exec_lo, exec_lo, s0
	s_mov_b32 s0, exec_lo
	s_delay_alu instid0(VALU_DEP_1)
	v_cmpx_lt_i64_e64 v[12:13], v[14:15]
	s_cbranch_execz .LBB26_60
.LBB26_64:
	v_mad_nc_u64_u32 v[16:17], v14, 31, v[12:13]
	s_delay_alu instid0(VALU_DEP_1) | instskip(NEXT) | instid1(VALU_DEP_1)
	v_mad_u32 v17, v15, 31, v17
	v_lshrrev_b64 v[16:17], 5, v[16:17]
	s_delay_alu instid0(VALU_DEP_1)
	v_lshl_add_u64 v[20:21], v[16:17], 2, s[2:3]
	global_load_b32 v19, v[20:21], off
	s_wait_xcnt 0x0
	v_add_nc_u64_e32 v[20:21], 1, v[16:17]
	s_wait_loadcnt 0x0
	v_cmp_lt_i32_e32 vcc_lo, v19, v18
	s_delay_alu instid0(VALU_DEP_2) | instskip(SKIP_2) | instid1(SALU_CYCLE_1)
	v_dual_cndmask_b32 v13, v13, v21 :: v_dual_cndmask_b32 v12, v12, v20
	v_dual_cndmask_b32 v15, v17, v15 :: v_dual_cndmask_b32 v14, v16, v14
	s_or_b32 exec_lo, exec_lo, s0
	s_mov_b32 s0, exec_lo
	s_delay_alu instid0(VALU_DEP_1)
	v_cmpx_lt_i64_e64 v[12:13], v[14:15]
	s_cbranch_execz .LBB26_61
.LBB26_65:
	v_mad_nc_u64_u32 v[16:17], v14, 15, v[12:13]
	s_delay_alu instid0(VALU_DEP_1) | instskip(NEXT) | instid1(VALU_DEP_1)
	v_mad_u32 v17, v15, 15, v17
	v_lshrrev_b64 v[16:17], 4, v[16:17]
	s_delay_alu instid0(VALU_DEP_1)
	v_lshl_add_u64 v[20:21], v[16:17], 2, s[2:3]
	global_load_b32 v19, v[20:21], off
	s_wait_xcnt 0x0
	v_add_nc_u64_e32 v[20:21], 1, v[16:17]
	s_wait_loadcnt 0x0
	v_cmp_lt_i32_e32 vcc_lo, v19, v18
	s_delay_alu instid0(VALU_DEP_2) | instskip(SKIP_2) | instid1(SALU_CYCLE_1)
	v_dual_cndmask_b32 v13, v13, v21 :: v_dual_cndmask_b32 v12, v12, v20
	v_dual_cndmask_b32 v15, v17, v15 :: v_dual_cndmask_b32 v14, v16, v14
	s_or_b32 exec_lo, exec_lo, s0
	s_mov_b32 s0, exec_lo
	s_delay_alu instid0(VALU_DEP_1)
	v_cmpx_lt_i64_e64 v[12:13], v[14:15]
	s_cbranch_execz .LBB26_69
.LBB26_66:
	s_mov_b32 s4, 0
.LBB26_67:                              ; =>This Inner Loop Header: Depth=1
	v_add_nc_u64_e32 v[16:17], v[12:13], v[14:15]
	s_delay_alu instid0(VALU_DEP_1) | instskip(NEXT) | instid1(VALU_DEP_1)
	v_lshrrev_b64 v[16:17], 1, v[16:17]
	v_lshl_add_u64 v[20:21], v[16:17], 2, s[2:3]
	global_load_b32 v19, v[20:21], off
	s_wait_xcnt 0x0
	v_add_nc_u64_e32 v[20:21], 1, v[16:17]
	s_wait_loadcnt 0x0
	v_cmp_lt_i32_e32 vcc_lo, v19, v18
	s_delay_alu instid0(VALU_DEP_2) | instskip(SKIP_1) | instid1(VALU_DEP_1)
	v_dual_cndmask_b32 v13, v13, v21 :: v_dual_cndmask_b32 v12, v12, v20
	v_dual_cndmask_b32 v15, v17, v15 :: v_dual_cndmask_b32 v14, v16, v14
	v_cmp_ge_i64_e32 vcc_lo, v[12:13], v[14:15]
	s_or_b32 s4, vcc_lo, s4
	s_delay_alu instid0(SALU_CYCLE_1)
	s_and_not1_b32 exec_lo, exec_lo, s4
	s_cbranch_execnz .LBB26_67
; %bb.68:
	s_or_b32 exec_lo, exec_lo, s4
.LBB26_69:
	s_delay_alu instid0(SALU_CYCLE_1) | instskip(SKIP_3) | instid1(VALU_DEP_1)
	s_or_b32 exec_lo, exec_lo, s0
	v_sub_nc_u64_e32 v[0:1], v[0:1], v[6:7]
	v_sub_nc_u64_e32 v[16:17], v[10:11], v[12:13]
	s_mov_b32 s0, exec_lo
	v_add_nc_u64_e32 v[14:15], v[16:17], v[0:1]
	s_delay_alu instid0(VALU_DEP_1) | instskip(NEXT) | instid1(VALU_DEP_1)
	v_ashrrev_i64 v[0:1], 1, v[14:15]
	v_max_i64 v[0:1], v[0:1], v[16:17]
	s_delay_alu instid0(VALU_DEP_1) | instskip(NEXT) | instid1(VALU_DEP_1)
	v_add_nc_u64_e32 v[12:13], v[12:13], v[0:1]
	v_add_nc_u64_e32 v[12:13], 1, v[12:13]
	s_delay_alu instid0(VALU_DEP_1) | instskip(NEXT) | instid1(VALU_DEP_1)
	v_min_i64 v[12:13], v[12:13], s[6:7]
	v_sub_nc_u64_e32 v[12:13], v[12:13], v[10:11]
	v_mov_b64_e32 v[10:11], 0
	s_delay_alu instid0(VALU_DEP_2)
	v_cmpx_lt_i64_e32 0, v[12:13]
	s_cbranch_execz .LBB26_73
; %bb.70:
	v_mov_b64_e32 v[10:11], 0
	s_mov_b32 s2, 0
.LBB26_71:                              ; =>This Inner Loop Header: Depth=1
	s_delay_alu instid0(VALU_DEP_1) | instskip(NEXT) | instid1(VALU_DEP_1)
	v_add_nc_u64_e32 v[20:21], v[10:11], v[12:13]
	v_lshrrev_b64 v[20:21], 1, v[20:21]
	s_delay_alu instid0(VALU_DEP_1)
	v_lshl_add_u64 v[22:23], v[20:21], 2, v[8:9]
	global_load_b32 v19, v[22:23], off
	s_wait_xcnt 0x0
	v_add_nc_u64_e32 v[22:23], 1, v[20:21]
	s_wait_loadcnt 0x0
	v_cmp_lt_i32_e32 vcc_lo, v18, v19
	s_delay_alu instid0(VALU_DEP_2) | instskip(SKIP_1) | instid1(VALU_DEP_1)
	v_dual_cndmask_b32 v11, v23, v11 :: v_dual_cndmask_b32 v10, v22, v10
	v_dual_cndmask_b32 v13, v13, v21 :: v_dual_cndmask_b32 v12, v12, v20
	v_cmp_ge_i64_e32 vcc_lo, v[10:11], v[12:13]
	s_or_b32 s2, vcc_lo, s2
	s_delay_alu instid0(SALU_CYCLE_1)
	s_and_not1_b32 exec_lo, exec_lo, s2
	s_cbranch_execnz .LBB26_71
; %bb.72:
	s_or_b32 exec_lo, exec_lo, s2
	v_ashrrev_i32_e32 v11, 31, v10
.LBB26_73:
	s_or_b32 exec_lo, exec_lo, s0
	s_delay_alu instid0(VALU_DEP_1) | instskip(SKIP_1) | instid1(VALU_DEP_1)
	v_add_nc_u64_e32 v[8:9], v[10:11], v[16:17]
	s_mov_b32 s2, 0
	v_min_i64 v[10:11], v[8:9], v[0:1]
	v_cmp_lt_i64_e32 vcc_lo, v[0:1], v[8:9]
	s_delay_alu instid0(VALU_DEP_2) | instskip(SKIP_1) | instid1(VALU_DEP_2)
	v_sub_nc_u64_e32 v[12:13], v[14:15], v[10:11]
	v_add_nc_u64_e32 v[10:11], 1, v[10:11]
	v_add_nc_u64_e32 v[0:1], v[12:13], v[6:7]
	s_delay_alu instid0(VALU_DEP_2) | instskip(SKIP_2) | instid1(SALU_CYCLE_1)
	v_cmp_eq_u64_e64 s0, v[12:13], v[10:11]
	v_mov_b32_e32 v7, s2
	s_and_b32 s0, s0, vcc_lo
	v_cndmask_b32_e64 v6, 0, 1, s0
.LBB26_74:
	s_or_b32 exec_lo, exec_lo, s1
	s_delay_alu instid0(VALU_DEP_1) | instskip(SKIP_1) | instid1(VALU_DEP_2)
	v_add_nc_u64_e32 v[2:3], v[6:7], v[2:3]
	v_lshl_add_u64 v[4:5], v[4:5], 4, s[8:9]
	v_sub_nc_u64_e32 v[2:3], v[2:3], v[0:1]
	global_store_b128 v[4:5], v[0:3], off
	s_endpgm
	.section	.rodata,"a",@progbits
	.p2align	6, 0x0
	.amdhsa_kernel _ZN6thrust23THRUST_200600_302600_NS11hip_rocprim14__parallel_for6kernelILj256EZNS1_16__set_operations9doit_stepILb0ENS0_6detail15normal_iteratorINS0_10device_ptrIKiEEEESB_PiSC_lNS7_INS8_IiEEEESC_NS0_4lessIiEENS4_31serial_set_symmetric_differenceEEE10hipError_tPvRmT0_T1_T2_T3_T4_SP_T5_T6_PSP_T7_T8_P12ihipStream_tbEUllE_jLj1EEEvSL_SM_SM_
		.amdhsa_group_segment_fixed_size 0
		.amdhsa_private_segment_fixed_size 0
		.amdhsa_kernarg_size 56
		.amdhsa_user_sgpr_count 2
		.amdhsa_user_sgpr_dispatch_ptr 0
		.amdhsa_user_sgpr_queue_ptr 0
		.amdhsa_user_sgpr_kernarg_segment_ptr 1
		.amdhsa_user_sgpr_dispatch_id 0
		.amdhsa_user_sgpr_kernarg_preload_length 0
		.amdhsa_user_sgpr_kernarg_preload_offset 0
		.amdhsa_user_sgpr_private_segment_size 0
		.amdhsa_wavefront_size32 1
		.amdhsa_uses_dynamic_stack 0
		.amdhsa_enable_private_segment 0
		.amdhsa_system_sgpr_workgroup_id_x 1
		.amdhsa_system_sgpr_workgroup_id_y 0
		.amdhsa_system_sgpr_workgroup_id_z 0
		.amdhsa_system_sgpr_workgroup_info 0
		.amdhsa_system_vgpr_workitem_id 0
		.amdhsa_next_free_vgpr 25
		.amdhsa_next_free_sgpr 16
		.amdhsa_named_barrier_count 0
		.amdhsa_reserve_vcc 1
		.amdhsa_float_round_mode_32 0
		.amdhsa_float_round_mode_16_64 0
		.amdhsa_float_denorm_mode_32 3
		.amdhsa_float_denorm_mode_16_64 3
		.amdhsa_fp16_overflow 0
		.amdhsa_memory_ordered 1
		.amdhsa_forward_progress 1
		.amdhsa_inst_pref_size 32
		.amdhsa_round_robin_scheduling 0
		.amdhsa_exception_fp_ieee_invalid_op 0
		.amdhsa_exception_fp_denorm_src 0
		.amdhsa_exception_fp_ieee_div_zero 0
		.amdhsa_exception_fp_ieee_overflow 0
		.amdhsa_exception_fp_ieee_underflow 0
		.amdhsa_exception_fp_ieee_inexact 0
		.amdhsa_exception_int_div_zero 0
	.end_amdhsa_kernel
	.section	.text._ZN6thrust23THRUST_200600_302600_NS11hip_rocprim14__parallel_for6kernelILj256EZNS1_16__set_operations9doit_stepILb0ENS0_6detail15normal_iteratorINS0_10device_ptrIKiEEEESB_PiSC_lNS7_INS8_IiEEEESC_NS0_4lessIiEENS4_31serial_set_symmetric_differenceEEE10hipError_tPvRmT0_T1_T2_T3_T4_SP_T5_T6_PSP_T7_T8_P12ihipStream_tbEUllE_jLj1EEEvSL_SM_SM_,"axG",@progbits,_ZN6thrust23THRUST_200600_302600_NS11hip_rocprim14__parallel_for6kernelILj256EZNS1_16__set_operations9doit_stepILb0ENS0_6detail15normal_iteratorINS0_10device_ptrIKiEEEESB_PiSC_lNS7_INS8_IiEEEESC_NS0_4lessIiEENS4_31serial_set_symmetric_differenceEEE10hipError_tPvRmT0_T1_T2_T3_T4_SP_T5_T6_PSP_T7_T8_P12ihipStream_tbEUllE_jLj1EEEvSL_SM_SM_,comdat
.Lfunc_end26:
	.size	_ZN6thrust23THRUST_200600_302600_NS11hip_rocprim14__parallel_for6kernelILj256EZNS1_16__set_operations9doit_stepILb0ENS0_6detail15normal_iteratorINS0_10device_ptrIKiEEEESB_PiSC_lNS7_INS8_IiEEEESC_NS0_4lessIiEENS4_31serial_set_symmetric_differenceEEE10hipError_tPvRmT0_T1_T2_T3_T4_SP_T5_T6_PSP_T7_T8_P12ihipStream_tbEUllE_jLj1EEEvSL_SM_SM_, .Lfunc_end26-_ZN6thrust23THRUST_200600_302600_NS11hip_rocprim14__parallel_for6kernelILj256EZNS1_16__set_operations9doit_stepILb0ENS0_6detail15normal_iteratorINS0_10device_ptrIKiEEEESB_PiSC_lNS7_INS8_IiEEEESC_NS0_4lessIiEENS4_31serial_set_symmetric_differenceEEE10hipError_tPvRmT0_T1_T2_T3_T4_SP_T5_T6_PSP_T7_T8_P12ihipStream_tbEUllE_jLj1EEEvSL_SM_SM_
                                        ; -- End function
	.set _ZN6thrust23THRUST_200600_302600_NS11hip_rocprim14__parallel_for6kernelILj256EZNS1_16__set_operations9doit_stepILb0ENS0_6detail15normal_iteratorINS0_10device_ptrIKiEEEESB_PiSC_lNS7_INS8_IiEEEESC_NS0_4lessIiEENS4_31serial_set_symmetric_differenceEEE10hipError_tPvRmT0_T1_T2_T3_T4_SP_T5_T6_PSP_T7_T8_P12ihipStream_tbEUllE_jLj1EEEvSL_SM_SM_.num_vgpr, 25
	.set _ZN6thrust23THRUST_200600_302600_NS11hip_rocprim14__parallel_for6kernelILj256EZNS1_16__set_operations9doit_stepILb0ENS0_6detail15normal_iteratorINS0_10device_ptrIKiEEEESB_PiSC_lNS7_INS8_IiEEEESC_NS0_4lessIiEENS4_31serial_set_symmetric_differenceEEE10hipError_tPvRmT0_T1_T2_T3_T4_SP_T5_T6_PSP_T7_T8_P12ihipStream_tbEUllE_jLj1EEEvSL_SM_SM_.num_agpr, 0
	.set _ZN6thrust23THRUST_200600_302600_NS11hip_rocprim14__parallel_for6kernelILj256EZNS1_16__set_operations9doit_stepILb0ENS0_6detail15normal_iteratorINS0_10device_ptrIKiEEEESB_PiSC_lNS7_INS8_IiEEEESC_NS0_4lessIiEENS4_31serial_set_symmetric_differenceEEE10hipError_tPvRmT0_T1_T2_T3_T4_SP_T5_T6_PSP_T7_T8_P12ihipStream_tbEUllE_jLj1EEEvSL_SM_SM_.numbered_sgpr, 16
	.set _ZN6thrust23THRUST_200600_302600_NS11hip_rocprim14__parallel_for6kernelILj256EZNS1_16__set_operations9doit_stepILb0ENS0_6detail15normal_iteratorINS0_10device_ptrIKiEEEESB_PiSC_lNS7_INS8_IiEEEESC_NS0_4lessIiEENS4_31serial_set_symmetric_differenceEEE10hipError_tPvRmT0_T1_T2_T3_T4_SP_T5_T6_PSP_T7_T8_P12ihipStream_tbEUllE_jLj1EEEvSL_SM_SM_.num_named_barrier, 0
	.set _ZN6thrust23THRUST_200600_302600_NS11hip_rocprim14__parallel_for6kernelILj256EZNS1_16__set_operations9doit_stepILb0ENS0_6detail15normal_iteratorINS0_10device_ptrIKiEEEESB_PiSC_lNS7_INS8_IiEEEESC_NS0_4lessIiEENS4_31serial_set_symmetric_differenceEEE10hipError_tPvRmT0_T1_T2_T3_T4_SP_T5_T6_PSP_T7_T8_P12ihipStream_tbEUllE_jLj1EEEvSL_SM_SM_.private_seg_size, 0
	.set _ZN6thrust23THRUST_200600_302600_NS11hip_rocprim14__parallel_for6kernelILj256EZNS1_16__set_operations9doit_stepILb0ENS0_6detail15normal_iteratorINS0_10device_ptrIKiEEEESB_PiSC_lNS7_INS8_IiEEEESC_NS0_4lessIiEENS4_31serial_set_symmetric_differenceEEE10hipError_tPvRmT0_T1_T2_T3_T4_SP_T5_T6_PSP_T7_T8_P12ihipStream_tbEUllE_jLj1EEEvSL_SM_SM_.uses_vcc, 1
	.set _ZN6thrust23THRUST_200600_302600_NS11hip_rocprim14__parallel_for6kernelILj256EZNS1_16__set_operations9doit_stepILb0ENS0_6detail15normal_iteratorINS0_10device_ptrIKiEEEESB_PiSC_lNS7_INS8_IiEEEESC_NS0_4lessIiEENS4_31serial_set_symmetric_differenceEEE10hipError_tPvRmT0_T1_T2_T3_T4_SP_T5_T6_PSP_T7_T8_P12ihipStream_tbEUllE_jLj1EEEvSL_SM_SM_.uses_flat_scratch, 0
	.set _ZN6thrust23THRUST_200600_302600_NS11hip_rocprim14__parallel_for6kernelILj256EZNS1_16__set_operations9doit_stepILb0ENS0_6detail15normal_iteratorINS0_10device_ptrIKiEEEESB_PiSC_lNS7_INS8_IiEEEESC_NS0_4lessIiEENS4_31serial_set_symmetric_differenceEEE10hipError_tPvRmT0_T1_T2_T3_T4_SP_T5_T6_PSP_T7_T8_P12ihipStream_tbEUllE_jLj1EEEvSL_SM_SM_.has_dyn_sized_stack, 0
	.set _ZN6thrust23THRUST_200600_302600_NS11hip_rocprim14__parallel_for6kernelILj256EZNS1_16__set_operations9doit_stepILb0ENS0_6detail15normal_iteratorINS0_10device_ptrIKiEEEESB_PiSC_lNS7_INS8_IiEEEESC_NS0_4lessIiEENS4_31serial_set_symmetric_differenceEEE10hipError_tPvRmT0_T1_T2_T3_T4_SP_T5_T6_PSP_T7_T8_P12ihipStream_tbEUllE_jLj1EEEvSL_SM_SM_.has_recursion, 0
	.set _ZN6thrust23THRUST_200600_302600_NS11hip_rocprim14__parallel_for6kernelILj256EZNS1_16__set_operations9doit_stepILb0ENS0_6detail15normal_iteratorINS0_10device_ptrIKiEEEESB_PiSC_lNS7_INS8_IiEEEESC_NS0_4lessIiEENS4_31serial_set_symmetric_differenceEEE10hipError_tPvRmT0_T1_T2_T3_T4_SP_T5_T6_PSP_T7_T8_P12ihipStream_tbEUllE_jLj1EEEvSL_SM_SM_.has_indirect_call, 0
	.section	.AMDGPU.csdata,"",@progbits
; Kernel info:
; codeLenInByte = 3992
; TotalNumSgprs: 18
; NumVgprs: 25
; ScratchSize: 0
; MemoryBound: 0
; FloatMode: 240
; IeeeMode: 1
; LDSByteSize: 0 bytes/workgroup (compile time only)
; SGPRBlocks: 0
; VGPRBlocks: 1
; NumSGPRsForWavesPerEU: 18
; NumVGPRsForWavesPerEU: 25
; NamedBarCnt: 0
; Occupancy: 16
; WaveLimiterHint : 0
; COMPUTE_PGM_RSRC2:SCRATCH_EN: 0
; COMPUTE_PGM_RSRC2:USER_SGPR: 2
; COMPUTE_PGM_RSRC2:TRAP_HANDLER: 0
; COMPUTE_PGM_RSRC2:TGID_X_EN: 1
; COMPUTE_PGM_RSRC2:TGID_Y_EN: 0
; COMPUTE_PGM_RSRC2:TGID_Z_EN: 0
; COMPUTE_PGM_RSRC2:TIDIG_COMP_CNT: 0
	.section	.text._ZN6thrust23THRUST_200600_302600_NS11hip_rocprim16__set_operations22lookback_set_op_kernelIN7rocprim17ROCPRIM_400000_NS13kernel_configILj256ELj16ELj4294967295EEELb0ENS0_6detail15normal_iteratorINS0_10device_ptrIKiEEEESD_PiSE_lNS9_INSA_IiEEEESE_NS0_4lessIiEENS2_31serial_set_symmetric_differenceENS5_6detail19lookback_scan_stateIlLb0ELb1EEEEEvT1_T2_T3_T4_T6_T7_T8_T9_PNS0_4pairIT5_SW_EEPSW_T10_NSK_16ordered_block_idIjEE,"axG",@progbits,_ZN6thrust23THRUST_200600_302600_NS11hip_rocprim16__set_operations22lookback_set_op_kernelIN7rocprim17ROCPRIM_400000_NS13kernel_configILj256ELj16ELj4294967295EEELb0ENS0_6detail15normal_iteratorINS0_10device_ptrIKiEEEESD_PiSE_lNS9_INSA_IiEEEESE_NS0_4lessIiEENS2_31serial_set_symmetric_differenceENS5_6detail19lookback_scan_stateIlLb0ELb1EEEEEvT1_T2_T3_T4_T6_T7_T8_T9_PNS0_4pairIT5_SW_EEPSW_T10_NSK_16ordered_block_idIjEE,comdat
	.protected	_ZN6thrust23THRUST_200600_302600_NS11hip_rocprim16__set_operations22lookback_set_op_kernelIN7rocprim17ROCPRIM_400000_NS13kernel_configILj256ELj16ELj4294967295EEELb0ENS0_6detail15normal_iteratorINS0_10device_ptrIKiEEEESD_PiSE_lNS9_INSA_IiEEEESE_NS0_4lessIiEENS2_31serial_set_symmetric_differenceENS5_6detail19lookback_scan_stateIlLb0ELb1EEEEEvT1_T2_T3_T4_T6_T7_T8_T9_PNS0_4pairIT5_SW_EEPSW_T10_NSK_16ordered_block_idIjEE ; -- Begin function _ZN6thrust23THRUST_200600_302600_NS11hip_rocprim16__set_operations22lookback_set_op_kernelIN7rocprim17ROCPRIM_400000_NS13kernel_configILj256ELj16ELj4294967295EEELb0ENS0_6detail15normal_iteratorINS0_10device_ptrIKiEEEESD_PiSE_lNS9_INSA_IiEEEESE_NS0_4lessIiEENS2_31serial_set_symmetric_differenceENS5_6detail19lookback_scan_stateIlLb0ELb1EEEEEvT1_T2_T3_T4_T6_T7_T8_T9_PNS0_4pairIT5_SW_EEPSW_T10_NSK_16ordered_block_idIjEE
	.globl	_ZN6thrust23THRUST_200600_302600_NS11hip_rocprim16__set_operations22lookback_set_op_kernelIN7rocprim17ROCPRIM_400000_NS13kernel_configILj256ELj16ELj4294967295EEELb0ENS0_6detail15normal_iteratorINS0_10device_ptrIKiEEEESD_PiSE_lNS9_INSA_IiEEEESE_NS0_4lessIiEENS2_31serial_set_symmetric_differenceENS5_6detail19lookback_scan_stateIlLb0ELb1EEEEEvT1_T2_T3_T4_T6_T7_T8_T9_PNS0_4pairIT5_SW_EEPSW_T10_NSK_16ordered_block_idIjEE
	.p2align	8
	.type	_ZN6thrust23THRUST_200600_302600_NS11hip_rocprim16__set_operations22lookback_set_op_kernelIN7rocprim17ROCPRIM_400000_NS13kernel_configILj256ELj16ELj4294967295EEELb0ENS0_6detail15normal_iteratorINS0_10device_ptrIKiEEEESD_PiSE_lNS9_INSA_IiEEEESE_NS0_4lessIiEENS2_31serial_set_symmetric_differenceENS5_6detail19lookback_scan_stateIlLb0ELb1EEEEEvT1_T2_T3_T4_T6_T7_T8_T9_PNS0_4pairIT5_SW_EEPSW_T10_NSK_16ordered_block_idIjEE,@function
_ZN6thrust23THRUST_200600_302600_NS11hip_rocprim16__set_operations22lookback_set_op_kernelIN7rocprim17ROCPRIM_400000_NS13kernel_configILj256ELj16ELj4294967295EEELb0ENS0_6detail15normal_iteratorINS0_10device_ptrIKiEEEESD_PiSE_lNS9_INSA_IiEEEESE_NS0_4lessIiEENS2_31serial_set_symmetric_differenceENS5_6detail19lookback_scan_stateIlLb0ELb1EEEEEvT1_T2_T3_T4_T6_T7_T8_T9_PNS0_4pairIT5_SW_EEPSW_T10_NSK_16ordered_block_idIjEE: ; @_ZN6thrust23THRUST_200600_302600_NS11hip_rocprim16__set_operations22lookback_set_op_kernelIN7rocprim17ROCPRIM_400000_NS13kernel_configILj256ELj16ELj4294967295EEELb0ENS0_6detail15normal_iteratorINS0_10device_ptrIKiEEEESD_PiSE_lNS9_INSA_IiEEEESE_NS0_4lessIiEENS2_31serial_set_symmetric_differenceENS5_6detail19lookback_scan_stateIlLb0ELb1EEEEEvT1_T2_T3_T4_T6_T7_T8_T9_PNS0_4pairIT5_SW_EEPSW_T10_NSK_16ordered_block_idIjEE
; %bb.0:
	s_clause 0x1
	s_load_b32 s3, s[0:1], 0x64
	s_load_b32 s2, s[0:1], 0x58
	v_bfe_u32 v1, v0, 10, 10
	v_bfe_u32 v2, v0, 20, 10
	s_load_b256 s[36:43], s[0:1], 0x38
	v_and_b32_e32 v16, 0x3ff, v0
	s_delay_alu instid0(VALU_DEP_1) | instskip(SKIP_4) | instid1(VALU_DEP_1)
	v_sub_nc_u32_e32 v0, 0, v16
	s_wait_kmcnt 0x0
	s_lshr_b32 s4, s3, 16
	s_and_b32 s3, s3, 0xffff
	v_mad_u32_u24 v1, v2, s4, v1
	v_mul_lo_u32 v1, v1, s3
	s_mov_b32 s3, exec_lo
	s_delay_alu instid0(VALU_DEP_1)
	v_cmpx_eq_u32_e64 v1, v0
	s_cbranch_execz .LBB27_4
; %bb.1:
	s_mov_b32 s5, exec_lo
	s_mov_b32 s4, exec_lo
	v_mbcnt_lo_u32_b32 v0, s5, 0
                                        ; implicit-def: $vgpr1
	s_delay_alu instid0(VALU_DEP_1)
	v_cmpx_eq_u32_e32 0, v0
	s_cbranch_execz .LBB27_3
; %bb.2:
	s_bcnt1_i32_b32 s5, s5
	s_delay_alu instid0(SALU_CYCLE_1)
	v_dual_mov_b32 v1, 0 :: v_dual_mov_b32 v2, s5
	global_atomic_add_u32 v1, v1, v2, s[42:43] th:TH_ATOMIC_RETURN scope:SCOPE_DEV
.LBB27_3:
	s_wait_xcnt 0x0
	s_or_b32 exec_lo, exec_lo, s4
	s_wait_loadcnt 0x0
	v_readfirstlane_b32 s4, v1
	s_delay_alu instid0(VALU_DEP_1)
	v_dual_mov_b32 v1, 0 :: v_dual_add_nc_u32 v0, s4, v0
	ds_store_b32 v1, v0 offset:36864
.LBB27_4:
	s_or_b32 exec_lo, exec_lo, s3
	v_mov_b32_e32 v0, 0
	s_wait_dscnt 0x0
	s_barrier_signal -1
	s_barrier_wait -1
	ds_load_b32 v1, v0 offset:36864
	s_clause 0x1
	s_load_b128 s[4:7], s[0:1], 0x0
	s_load_b64 s[42:43], s[0:1], 0x20
	s_add_co_i32 s2, s2, -1
	s_wait_xcnt 0x0
	s_mov_b32 s0, -1
	s_wait_dscnt 0x0
	s_clause 0x1
	global_load_b128 v[2:5], v1, s[36:37] scale_offset
	global_load_b128 v[6:9], v1, s[36:37] offset:16 scale_offset
	v_cmp_le_i32_e32 vcc_lo, s2, v1
	s_wait_xcnt 0x0
	v_readfirstlane_b32 s37, v1
	s_and_b32 vcc_lo, exec_lo, vcc_lo
	s_wait_loadcnt 0x1
	v_readfirstlane_b32 s3, v2
	v_lshlrev_b64_e32 v[10:11], 2, v[4:5]
	s_wait_loadcnt 0x0
	v_readfirstlane_b32 s1, v6
	s_delay_alu instid0(VALU_DEP_3) | instskip(SKIP_3) | instid1(VALU_DEP_2)
	v_dual_sub_nc_u32 v26, v8, v4 :: v_dual_mov_b32 v2, s3
	s_sub_co_i32 s44, s1, s3
	s_wait_kmcnt 0x0
	v_add_nc_u64_e32 v[18:19], s[6:7], v[10:11]
	v_lshlrev_b64_e32 v[2:3], 2, v[2:3]
	s_delay_alu instid0(VALU_DEP_1)
	v_add_nc_u64_e32 v[20:21], s[4:5], v[2:3]
	s_cbranch_vccz .LBB27_255
; %bb.5:
	v_dual_mov_b32 v1, v0 :: v_dual_add_nc_u32 v22, s44, v26
	v_dual_mov_b32 v2, v0 :: v_dual_mov_b32 v3, v0
	v_dual_mov_b32 v4, v0 :: v_dual_mov_b32 v5, v0
	;; [unrolled: 1-line block ×7, first 2 shown]
	s_mov_b32 s0, exec_lo
	v_cmpx_lt_i32_e64 v16, v22
	s_cbranch_execz .LBB27_7
; %bb.6:
	v_dual_mov_b32 v1, 0 :: v_dual_lshlrev_b32 v0, 2, v16
	v_cmp_gt_i32_e32 vcc_lo, s44, v16
	s_delay_alu instid0(VALU_DEP_2) | instskip(SKIP_3) | instid1(VALU_DEP_3)
	v_add_nc_u64_e32 v[2:3], v[20:21], v[0:1]
	v_subrev_nc_u32_e32 v0, s44, v16
	v_dual_mov_b32 v6, v1 :: v_dual_mov_b32 v7, v1
	v_dual_mov_b32 v8, v1 :: v_dual_mov_b32 v9, v1
	v_lshl_add_u64 v[4:5], v[0:1], 2, v[18:19]
	v_dual_mov_b32 v10, v1 :: v_dual_mov_b32 v11, v1
	v_dual_mov_b32 v12, v1 :: v_dual_mov_b32 v13, v1
	s_delay_alu instid0(VALU_DEP_3)
	v_dual_cndmask_b32 v3, v5, v3 :: v_dual_cndmask_b32 v2, v4, v2
	v_dual_mov_b32 v4, v1 :: v_dual_mov_b32 v5, v1
	v_dual_mov_b32 v14, v1 :: v_dual_mov_b32 v15, v1
	global_load_b32 v0, v[2:3], off
	s_wait_xcnt 0x0
	v_dual_mov_b32 v2, v1 :: v_dual_mov_b32 v3, v1
.LBB27_7:
	s_or_b32 exec_lo, exec_lo, s0
	v_add_nc_u32_e32 v17, 0x100, v16
	s_mov_b32 s0, exec_lo
	s_delay_alu instid0(VALU_DEP_1)
	v_cmpx_lt_i32_e64 v17, v22
	s_cbranch_execz .LBB27_9
; %bb.8:
	v_dual_mov_b32 v25, 0 :: v_dual_lshlrev_b32 v24, 2, v16
	v_cmp_gt_i32_e32 vcc_lo, s44, v17
	s_delay_alu instid0(VALU_DEP_2) | instskip(SKIP_1) | instid1(VALU_DEP_1)
	v_add_nc_u64_e32 v[28:29], v[20:21], v[24:25]
	v_subrev_nc_u32_e32 v24, s44, v17
	v_lshl_add_u64 v[24:25], v[24:25], 2, v[18:19]
	s_delay_alu instid0(VALU_DEP_3) | instskip(NEXT) | instid1(VALU_DEP_1)
	v_add_nc_u64_e32 v[28:29], 0x400, v[28:29]
	v_dual_cndmask_b32 v25, v25, v29 :: v_dual_cndmask_b32 v24, v24, v28
	global_load_b32 v1, v[24:25], off
.LBB27_9:
	s_wait_xcnt 0x0
	s_or_b32 exec_lo, exec_lo, s0
	v_add_nc_u32_e32 v23, 0x200, v16
	s_mov_b32 s0, exec_lo
	s_delay_alu instid0(VALU_DEP_1)
	v_cmpx_lt_i32_e64 v23, v22
	s_cbranch_execz .LBB27_11
; %bb.10:
	v_dual_mov_b32 v25, 0 :: v_dual_lshlrev_b32 v24, 2, v16
	v_cmp_gt_i32_e32 vcc_lo, s44, v23
	s_delay_alu instid0(VALU_DEP_2) | instskip(SKIP_1) | instid1(VALU_DEP_1)
	v_add_nc_u64_e32 v[28:29], v[20:21], v[24:25]
	v_subrev_nc_u32_e32 v24, s44, v23
	v_lshl_add_u64 v[24:25], v[24:25], 2, v[18:19]
	s_delay_alu instid0(VALU_DEP_3) | instskip(NEXT) | instid1(VALU_DEP_1)
	v_add_nc_u64_e32 v[28:29], 0x800, v[28:29]
	v_dual_cndmask_b32 v25, v25, v29 :: v_dual_cndmask_b32 v24, v24, v28
	global_load_b32 v2, v[24:25], off
.LBB27_11:
	s_wait_xcnt 0x0
	;; [unrolled: 19-line block ×3, first 2 shown]
	s_or_b32 exec_lo, exec_lo, s0
	v_or_b32_e32 v23, 0x400, v16
	s_mov_b32 s0, exec_lo
	s_delay_alu instid0(VALU_DEP_1)
	v_cmpx_lt_i32_e64 v23, v22
	s_cbranch_execz .LBB27_15
; %bb.14:
	v_dual_mov_b32 v25, 0 :: v_dual_lshlrev_b32 v24, 2, v16
	v_cmp_gt_i32_e32 vcc_lo, s44, v23
	s_delay_alu instid0(VALU_DEP_2) | instskip(SKIP_1) | instid1(VALU_DEP_1)
	v_add_nc_u64_e32 v[28:29], v[20:21], v[24:25]
	v_subrev_nc_u32_e32 v24, s44, v23
	v_lshl_add_u64 v[24:25], v[24:25], 2, v[18:19]
	s_delay_alu instid0(VALU_DEP_3) | instskip(NEXT) | instid1(VALU_DEP_1)
	v_add_nc_u64_e32 v[28:29], 0x1000, v[28:29]
	v_dual_cndmask_b32 v25, v25, v29 :: v_dual_cndmask_b32 v24, v24, v28
	global_load_b32 v4, v[24:25], off
.LBB27_15:
	s_wait_xcnt 0x0
	s_or_b32 exec_lo, exec_lo, s0
	v_add_nc_u32_e32 v23, 0x500, v16
	s_mov_b32 s0, exec_lo
	s_delay_alu instid0(VALU_DEP_1)
	v_cmpx_lt_i32_e64 v23, v22
	s_cbranch_execz .LBB27_17
; %bb.16:
	v_dual_mov_b32 v25, 0 :: v_dual_lshlrev_b32 v24, 2, v16
	v_cmp_gt_i32_e32 vcc_lo, s44, v23
	s_delay_alu instid0(VALU_DEP_2) | instskip(SKIP_1) | instid1(VALU_DEP_1)
	v_add_nc_u64_e32 v[28:29], v[20:21], v[24:25]
	v_subrev_nc_u32_e32 v24, s44, v23
	v_lshl_add_u64 v[24:25], v[24:25], 2, v[18:19]
	s_delay_alu instid0(VALU_DEP_3) | instskip(NEXT) | instid1(VALU_DEP_1)
	v_add_nc_u64_e32 v[28:29], 0x1400, v[28:29]
	v_dual_cndmask_b32 v25, v25, v29 :: v_dual_cndmask_b32 v24, v24, v28
	global_load_b32 v5, v[24:25], off
.LBB27_17:
	s_wait_xcnt 0x0
	s_or_b32 exec_lo, exec_lo, s0
	v_add_nc_u32_e32 v23, 0x600, v16
	;; [unrolled: 19-line block ×3, first 2 shown]
	s_mov_b32 s0, exec_lo
	s_delay_alu instid0(VALU_DEP_1)
	v_cmpx_lt_i32_e64 v23, v22
	s_cbranch_execz .LBB27_21
; %bb.20:
	v_dual_mov_b32 v25, 0 :: v_dual_lshlrev_b32 v24, 2, v16
	v_cmp_gt_i32_e32 vcc_lo, s44, v23
	s_delay_alu instid0(VALU_DEP_2) | instskip(SKIP_1) | instid1(VALU_DEP_1)
	v_add_nc_u64_e32 v[28:29], v[20:21], v[24:25]
	v_subrev_nc_u32_e32 v24, s44, v23
	v_lshl_add_u64 v[24:25], v[24:25], 2, v[18:19]
	s_delay_alu instid0(VALU_DEP_3) | instskip(NEXT) | instid1(VALU_DEP_1)
	v_add_nc_u64_e32 v[28:29], 0x1c00, v[28:29]
	v_dual_cndmask_b32 v25, v25, v29 :: v_dual_cndmask_b32 v24, v24, v28
	global_load_b32 v7, v[24:25], off
.LBB27_21:
	s_wait_xcnt 0x0
	s_or_b32 exec_lo, exec_lo, s0
	v_or_b32_e32 v23, 0x800, v16
	s_mov_b32 s0, exec_lo
	s_delay_alu instid0(VALU_DEP_1)
	v_cmpx_lt_i32_e64 v23, v22
	s_cbranch_execz .LBB27_23
; %bb.22:
	v_dual_mov_b32 v25, 0 :: v_dual_lshlrev_b32 v24, 2, v16
	v_cmp_gt_i32_e32 vcc_lo, s44, v23
	s_delay_alu instid0(VALU_DEP_2) | instskip(SKIP_1) | instid1(VALU_DEP_1)
	v_add_nc_u64_e32 v[28:29], v[20:21], v[24:25]
	v_subrev_nc_u32_e32 v24, s44, v23
	v_lshl_add_u64 v[24:25], v[24:25], 2, v[18:19]
	s_delay_alu instid0(VALU_DEP_3) | instskip(NEXT) | instid1(VALU_DEP_1)
	v_add_nc_u64_e32 v[28:29], 0x2000, v[28:29]
	v_dual_cndmask_b32 v25, v25, v29 :: v_dual_cndmask_b32 v24, v24, v28
	global_load_b32 v8, v[24:25], off
.LBB27_23:
	s_wait_xcnt 0x0
	s_or_b32 exec_lo, exec_lo, s0
	v_add_nc_u32_e32 v23, 0x900, v16
	s_mov_b32 s0, exec_lo
	s_delay_alu instid0(VALU_DEP_1)
	v_cmpx_lt_i32_e64 v23, v22
	s_cbranch_execz .LBB27_25
; %bb.24:
	v_dual_mov_b32 v25, 0 :: v_dual_lshlrev_b32 v24, 2, v16
	v_cmp_gt_i32_e32 vcc_lo, s44, v23
	s_delay_alu instid0(VALU_DEP_2) | instskip(SKIP_1) | instid1(VALU_DEP_1)
	v_add_nc_u64_e32 v[28:29], v[20:21], v[24:25]
	v_subrev_nc_u32_e32 v24, s44, v23
	v_lshl_add_u64 v[24:25], v[24:25], 2, v[18:19]
	s_delay_alu instid0(VALU_DEP_3) | instskip(NEXT) | instid1(VALU_DEP_1)
	v_add_nc_u64_e32 v[28:29], 0x2400, v[28:29]
	v_dual_cndmask_b32 v25, v25, v29 :: v_dual_cndmask_b32 v24, v24, v28
	global_load_b32 v9, v[24:25], off
.LBB27_25:
	s_wait_xcnt 0x0
	s_or_b32 exec_lo, exec_lo, s0
	v_add_nc_u32_e32 v23, 0xa00, v16
	;; [unrolled: 19-line block ×3, first 2 shown]
	s_mov_b32 s0, exec_lo
	s_delay_alu instid0(VALU_DEP_1)
	v_cmpx_lt_i32_e64 v23, v22
	s_cbranch_execz .LBB27_29
; %bb.28:
	v_dual_mov_b32 v25, 0 :: v_dual_lshlrev_b32 v24, 2, v16
	v_cmp_gt_i32_e32 vcc_lo, s44, v23
	s_delay_alu instid0(VALU_DEP_2) | instskip(SKIP_1) | instid1(VALU_DEP_1)
	v_add_nc_u64_e32 v[28:29], v[20:21], v[24:25]
	v_subrev_nc_u32_e32 v24, s44, v23
	v_lshl_add_u64 v[24:25], v[24:25], 2, v[18:19]
	s_delay_alu instid0(VALU_DEP_3) | instskip(NEXT) | instid1(VALU_DEP_1)
	v_add_nc_u64_e32 v[28:29], 0x2c00, v[28:29]
	v_dual_cndmask_b32 v25, v25, v29 :: v_dual_cndmask_b32 v24, v24, v28
	global_load_b32 v11, v[24:25], off
.LBB27_29:
	s_wait_xcnt 0x0
	s_or_b32 exec_lo, exec_lo, s0
	v_or_b32_e32 v23, 0xc00, v16
	s_mov_b32 s0, exec_lo
	s_delay_alu instid0(VALU_DEP_1)
	v_cmpx_lt_i32_e64 v23, v22
	s_cbranch_execz .LBB27_31
; %bb.30:
	v_dual_mov_b32 v25, 0 :: v_dual_lshlrev_b32 v24, 2, v16
	v_cmp_gt_i32_e32 vcc_lo, s44, v23
	s_delay_alu instid0(VALU_DEP_2) | instskip(SKIP_1) | instid1(VALU_DEP_1)
	v_add_nc_u64_e32 v[28:29], v[20:21], v[24:25]
	v_subrev_nc_u32_e32 v24, s44, v23
	v_lshl_add_u64 v[24:25], v[24:25], 2, v[18:19]
	s_delay_alu instid0(VALU_DEP_3) | instskip(NEXT) | instid1(VALU_DEP_1)
	v_add_nc_u64_e32 v[28:29], 0x3000, v[28:29]
	v_dual_cndmask_b32 v25, v25, v29 :: v_dual_cndmask_b32 v24, v24, v28
	global_load_b32 v12, v[24:25], off
.LBB27_31:
	s_wait_xcnt 0x0
	s_or_b32 exec_lo, exec_lo, s0
	v_add_nc_u32_e32 v23, 0xd00, v16
	s_mov_b32 s0, exec_lo
	s_delay_alu instid0(VALU_DEP_1)
	v_cmpx_lt_i32_e64 v23, v22
	s_cbranch_execz .LBB27_33
; %bb.32:
	v_dual_mov_b32 v25, 0 :: v_dual_lshlrev_b32 v24, 2, v16
	v_cmp_gt_i32_e32 vcc_lo, s44, v23
	s_delay_alu instid0(VALU_DEP_2) | instskip(SKIP_1) | instid1(VALU_DEP_1)
	v_add_nc_u64_e32 v[28:29], v[20:21], v[24:25]
	v_subrev_nc_u32_e32 v24, s44, v23
	v_lshl_add_u64 v[24:25], v[24:25], 2, v[18:19]
	s_delay_alu instid0(VALU_DEP_3) | instskip(NEXT) | instid1(VALU_DEP_1)
	v_add_nc_u64_e32 v[28:29], 0x3400, v[28:29]
	v_dual_cndmask_b32 v25, v25, v29 :: v_dual_cndmask_b32 v24, v24, v28
	global_load_b32 v13, v[24:25], off
.LBB27_33:
	s_wait_xcnt 0x0
	s_or_b32 exec_lo, exec_lo, s0
	v_add_nc_u32_e32 v23, 0xe00, v16
	;; [unrolled: 19-line block ×3, first 2 shown]
	s_mov_b32 s0, exec_lo
	s_delay_alu instid0(VALU_DEP_1)
	v_cmpx_lt_i32_e64 v23, v22
	s_cbranch_execz .LBB27_37
; %bb.36:
	v_dual_mov_b32 v25, 0 :: v_dual_lshlrev_b32 v24, 2, v16
	v_cmp_gt_i32_e32 vcc_lo, s44, v23
	s_delay_alu instid0(VALU_DEP_2) | instskip(SKIP_1) | instid1(VALU_DEP_1)
	v_add_nc_u64_e32 v[28:29], v[20:21], v[24:25]
	v_subrev_nc_u32_e32 v24, s44, v23
	v_lshl_add_u64 v[24:25], v[24:25], 2, v[18:19]
	s_delay_alu instid0(VALU_DEP_3) | instskip(NEXT) | instid1(VALU_DEP_1)
	v_add_nc_u64_e32 v[28:29], 0x3c00, v[28:29]
	v_dual_cndmask_b32 v25, v25, v29 :: v_dual_cndmask_b32 v24, v24, v28
	global_load_b32 v15, v[24:25], off
.LBB27_37:
	s_wait_xcnt 0x0
	s_or_b32 exec_lo, exec_lo, s0
	v_lshlrev_b32_e32 v23, 2, v16
	s_lshl_b32 s0, s44, 2
	s_mov_b32 s2, 0
	s_addk_co_i32 s0, 0x4800
	s_mov_b32 s1, exec_lo
	s_wait_loadcnt 0x0
	ds_store_2addr_stride64_b32 v23, v2, v3 offset0:84 offset1:88
	ds_store_2addr_stride64_b32 v23, v4, v5 offset0:92 offset1:96
	;; [unrolled: 1-line block ×6, first 2 shown]
	v_lshlrev_b32_e32 v0, 4, v16
	ds_store_2addr_stride64_b32 v23, v12, v13 offset0:124 offset1:128
	ds_store_2addr_stride64_b32 v23, v14, v15 offset0:132 offset1:136
	s_wait_dscnt 0x0
	s_barrier_signal -1
	v_min_i32_e32 v1, v22, v0
	s_barrier_wait -1
	s_delay_alu instid0(VALU_DEP_1) | instskip(NEXT) | instid1(VALU_DEP_1)
	v_dual_sub_nc_u32 v0, v1, v26 :: v_dual_min_i32 v2, s44, v1
	v_max_i32_e32 v0, 0, v0
	s_delay_alu instid0(VALU_DEP_1)
	v_cmpx_lt_i32_e64 v0, v2
	s_cbranch_execz .LBB27_41
; %bb.38:
	v_lshlrev_b32_e32 v3, 2, v1
	s_delay_alu instid0(VALU_DEP_1)
	v_add3_u32 v3, s0, v3, 0x400
.LBB27_39:                              ; =>This Inner Loop Header: Depth=1
	v_add_nc_u32_e32 v4, v2, v0
	s_delay_alu instid0(VALU_DEP_1) | instskip(NEXT) | instid1(VALU_DEP_1)
	v_lshrrev_b32_e32 v4, 1, v4
	v_not_b32_e32 v5, v4
	v_dual_lshlrev_b32 v6, 2, v4 :: v_dual_add_nc_u32 v7, 1, v4
	s_delay_alu instid0(VALU_DEP_2)
	v_lshl_add_u32 v5, v5, 2, v3
	ds_load_b32 v6, v6 offset:19456
	ds_load_b32 v5, v5
	s_wait_dscnt 0x0
	v_cmp_lt_i32_e32 vcc_lo, v5, v6
	v_cndmask_b32_e32 v2, v2, v4, vcc_lo
	v_cndmask_b32_e32 v0, v7, v0, vcc_lo
	s_delay_alu instid0(VALU_DEP_1) | instskip(SKIP_1) | instid1(SALU_CYCLE_1)
	v_cmp_ge_i32_e32 vcc_lo, v0, v2
	s_or_b32 s2, vcc_lo, s2
	s_and_not1_b32 exec_lo, exec_lo, s2
	s_cbranch_execnz .LBB27_39
; %bb.40:
	s_or_b32 exec_lo, exec_lo, s2
.LBB27_41:
	s_delay_alu instid0(SALU_CYCLE_1) | instskip(SKIP_3) | instid1(VALU_DEP_1)
	s_or_b32 exec_lo, exec_lo, s1
	v_dual_mov_b32 v4, 0 :: v_dual_add_nc_u32 v3, 0x4800, v23
	v_sub_nc_u32_e32 v6, v1, v0
	s_mov_b32 s1, exec_lo
	v_cmpx_lt_i32_e64 v6, v26
	s_cbranch_execz .LBB27_71
; %bb.42:
	v_lshl_add_u32 v4, v6, 2, s0
	v_dual_mov_b32 v2, 0 :: v_dual_mov_b32 v7, 0
	s_mov_b32 s2, exec_lo
	ds_load_b32 v5, v4 offset:1024
	v_cmpx_lt_i32_e32 0, v0
	s_cbranch_execnz .LBB27_47
; %bb.43:
	s_or_b32 exec_lo, exec_lo, s2
	s_delay_alu instid0(SALU_CYCLE_1)
	s_mov_b32 s2, exec_lo
	v_cmpx_lt_i32_e64 v2, v7
	s_cbranch_execnz .LBB27_48
.LBB27_44:
	s_or_b32 exec_lo, exec_lo, s2
	s_delay_alu instid0(SALU_CYCLE_1)
	s_mov_b32 s2, exec_lo
	v_cmpx_lt_i32_e64 v2, v7
	s_cbranch_execnz .LBB27_49
.LBB27_45:
	s_or_b32 exec_lo, exec_lo, s2
	s_delay_alu instid0(SALU_CYCLE_1)
	s_mov_b32 s2, exec_lo
	v_cmpx_lt_i32_e64 v2, v7
	s_cbranch_execnz .LBB27_50
.LBB27_46:
	s_or_b32 exec_lo, exec_lo, s2
	s_delay_alu instid0(SALU_CYCLE_1)
	s_mov_b32 s2, exec_lo
	v_cmpx_lt_i32_e64 v2, v7
	s_cbranch_execnz .LBB27_51
	s_branch .LBB27_54
.LBB27_47:
	v_mul_lo_u32 v2, 0x1ff, v0
	s_delay_alu instid0(VALU_DEP_1) | instskip(NEXT) | instid1(VALU_DEP_1)
	v_ashrrev_i32_e32 v7, 9, v2
	v_dual_lshlrev_b32 v2, 2, v7 :: v_dual_add_nc_u32 v8, 1, v7
	ds_load_b32 v2, v2 offset:19456
	s_wait_dscnt 0x0
	v_cmp_lt_i32_e32 vcc_lo, v2, v5
	v_cndmask_b32_e32 v2, 0, v8, vcc_lo
	v_cndmask_b32_e32 v7, v7, v0, vcc_lo
	s_or_b32 exec_lo, exec_lo, s2
	s_delay_alu instid0(SALU_CYCLE_1) | instskip(NEXT) | instid1(VALU_DEP_1)
	s_mov_b32 s2, exec_lo
	v_cmpx_lt_i32_e64 v2, v7
	s_cbranch_execz .LBB27_44
.LBB27_48:
	v_sub_nc_u32_e32 v8, v2, v7
	s_delay_alu instid0(VALU_DEP_1) | instskip(NEXT) | instid1(VALU_DEP_1)
	v_lshl_add_u32 v8, v7, 7, v8
	v_ashrrev_i32_e32 v8, 7, v8
	s_delay_alu instid0(VALU_DEP_1)
	v_dual_lshlrev_b32 v9, 2, v8 :: v_dual_add_nc_u32 v10, 1, v8
	ds_load_b32 v9, v9 offset:19456
	s_wait_dscnt 0x0
	v_cmp_lt_i32_e32 vcc_lo, v9, v5
	v_dual_cndmask_b32 v2, v2, v10 :: v_dual_cndmask_b32 v7, v8, v7
	s_or_b32 exec_lo, exec_lo, s2
	s_delay_alu instid0(SALU_CYCLE_1) | instskip(NEXT) | instid1(VALU_DEP_1)
	s_mov_b32 s2, exec_lo
	v_cmpx_lt_i32_e64 v2, v7
	s_cbranch_execz .LBB27_45
.LBB27_49:
	v_sub_nc_u32_e32 v8, v2, v7
	s_delay_alu instid0(VALU_DEP_1) | instskip(NEXT) | instid1(VALU_DEP_1)
	v_lshl_add_u32 v8, v7, 5, v8
	v_ashrrev_i32_e32 v8, 5, v8
	s_delay_alu instid0(VALU_DEP_1)
	v_dual_lshlrev_b32 v9, 2, v8 :: v_dual_add_nc_u32 v10, 1, v8
	ds_load_b32 v9, v9 offset:19456
	s_wait_dscnt 0x0
	v_cmp_lt_i32_e32 vcc_lo, v9, v5
	v_dual_cndmask_b32 v2, v2, v10 :: v_dual_cndmask_b32 v7, v8, v7
	s_or_b32 exec_lo, exec_lo, s2
	s_delay_alu instid0(SALU_CYCLE_1) | instskip(NEXT) | instid1(VALU_DEP_1)
	s_mov_b32 s2, exec_lo
	v_cmpx_lt_i32_e64 v2, v7
	s_cbranch_execz .LBB27_46
.LBB27_50:
	v_sub_nc_u32_e32 v8, v2, v7
	s_delay_alu instid0(VALU_DEP_1) | instskip(NEXT) | instid1(VALU_DEP_1)
	v_lshl_add_u32 v8, v7, 4, v8
	v_ashrrev_i32_e32 v8, 4, v8
	s_delay_alu instid0(VALU_DEP_1)
	v_dual_lshlrev_b32 v9, 2, v8 :: v_dual_add_nc_u32 v10, 1, v8
	ds_load_b32 v9, v9 offset:19456
	s_wait_dscnt 0x0
	v_cmp_lt_i32_e32 vcc_lo, v9, v5
	v_dual_cndmask_b32 v2, v2, v10 :: v_dual_cndmask_b32 v7, v8, v7
	s_or_b32 exec_lo, exec_lo, s2
	s_delay_alu instid0(SALU_CYCLE_1) | instskip(NEXT) | instid1(VALU_DEP_1)
	s_mov_b32 s2, exec_lo
	v_cmpx_lt_i32_e64 v2, v7
	s_cbranch_execz .LBB27_54
.LBB27_51:
	s_mov_b32 s3, 0
.LBB27_52:                              ; =>This Inner Loop Header: Depth=1
	v_sub_nc_u32_e32 v8, v2, v7
	s_delay_alu instid0(VALU_DEP_1) | instskip(NEXT) | instid1(VALU_DEP_1)
	v_lshl_add_u32 v8, v7, 1, v8
	v_ashrrev_i32_e32 v8, 1, v8
	s_delay_alu instid0(VALU_DEP_1) | instskip(SKIP_4) | instid1(VALU_DEP_1)
	v_dual_lshlrev_b32 v9, 2, v8 :: v_dual_add_nc_u32 v10, 1, v8
	ds_load_b32 v9, v9 offset:19456
	s_wait_dscnt 0x0
	v_cmp_lt_i32_e32 vcc_lo, v9, v5
	v_dual_cndmask_b32 v2, v2, v10 :: v_dual_cndmask_b32 v7, v8, v7
	v_cmp_ge_i32_e32 vcc_lo, v2, v7
	s_or_b32 s3, vcc_lo, s3
	s_delay_alu instid0(SALU_CYCLE_1)
	s_and_not1_b32 exec_lo, exec_lo, s3
	s_cbranch_execnz .LBB27_52
; %bb.53:
	s_or_b32 exec_lo, exec_lo, s3
.LBB27_54:
	s_delay_alu instid0(SALU_CYCLE_1)
	s_or_b32 exec_lo, exec_lo, s2
	v_dual_mov_b32 v7, 0 :: v_dual_mov_b32 v8, v6
	s_mov_b32 s2, exec_lo
	v_cmpx_lt_i32_e32 0, v6
	s_cbranch_execnz .LBB27_59
; %bb.55:
	s_or_b32 exec_lo, exec_lo, s2
	s_delay_alu instid0(SALU_CYCLE_1)
	s_mov_b32 s2, exec_lo
	v_cmpx_lt_i32_e64 v7, v8
	s_cbranch_execnz .LBB27_60
.LBB27_56:
	s_or_b32 exec_lo, exec_lo, s2
	s_delay_alu instid0(SALU_CYCLE_1)
	s_mov_b32 s2, exec_lo
	v_cmpx_lt_i32_e64 v7, v8
	s_cbranch_execnz .LBB27_61
.LBB27_57:
	s_or_b32 exec_lo, exec_lo, s2
	s_delay_alu instid0(SALU_CYCLE_1)
	s_mov_b32 s2, exec_lo
	v_cmpx_lt_i32_e64 v7, v8
	s_cbranch_execnz .LBB27_62
.LBB27_58:
	s_or_b32 exec_lo, exec_lo, s2
	s_delay_alu instid0(SALU_CYCLE_1)
	s_mov_b32 s2, exec_lo
	v_cmpx_lt_i32_e64 v7, v8
	s_cbranch_execnz .LBB27_63
	s_branch .LBB27_66
.LBB27_59:
	v_mul_lo_u32 v7, 0x1ff, v6
	s_delay_alu instid0(VALU_DEP_1) | instskip(NEXT) | instid1(VALU_DEP_1)
	v_lshrrev_b32_e32 v8, 9, v7
	v_lshl_add_u32 v7, v8, 2, s0
	ds_load_b32 v7, v7 offset:1024
	s_wait_dscnt 0x0
	v_cmp_lt_i32_e32 vcc_lo, v7, v5
	v_add_nc_u32_e32 v9, 1, v8
	s_delay_alu instid0(VALU_DEP_1) | instskip(SKIP_1) | instid1(SALU_CYCLE_1)
	v_dual_cndmask_b32 v7, 0, v9 :: v_dual_cndmask_b32 v8, v8, v6
	s_or_b32 exec_lo, exec_lo, s2
	s_mov_b32 s2, exec_lo
	s_delay_alu instid0(VALU_DEP_1)
	v_cmpx_lt_i32_e64 v7, v8
	s_cbranch_execz .LBB27_56
.LBB27_60:
	v_sub_nc_u32_e32 v9, v7, v8
	s_delay_alu instid0(VALU_DEP_1) | instskip(NEXT) | instid1(VALU_DEP_1)
	v_lshl_add_u32 v9, v8, 7, v9
	v_ashrrev_i32_e32 v9, 7, v9
	s_delay_alu instid0(VALU_DEP_1) | instskip(SKIP_4) | instid1(VALU_DEP_1)
	v_lshl_add_u32 v10, v9, 2, s0
	ds_load_b32 v10, v10 offset:1024
	s_wait_dscnt 0x0
	v_cmp_lt_i32_e32 vcc_lo, v10, v5
	v_dual_cndmask_b32 v8, v9, v8 :: v_dual_add_nc_u32 v11, 1, v9
	v_cndmask_b32_e32 v7, v7, v11, vcc_lo
	s_or_b32 exec_lo, exec_lo, s2
	s_delay_alu instid0(SALU_CYCLE_1) | instskip(NEXT) | instid1(VALU_DEP_1)
	s_mov_b32 s2, exec_lo
	v_cmpx_lt_i32_e64 v7, v8
	s_cbranch_execz .LBB27_57
.LBB27_61:
	v_sub_nc_u32_e32 v9, v7, v8
	s_delay_alu instid0(VALU_DEP_1) | instskip(NEXT) | instid1(VALU_DEP_1)
	v_lshl_add_u32 v9, v8, 5, v9
	v_ashrrev_i32_e32 v9, 5, v9
	s_delay_alu instid0(VALU_DEP_1) | instskip(SKIP_4) | instid1(VALU_DEP_1)
	v_lshl_add_u32 v10, v9, 2, s0
	ds_load_b32 v10, v10 offset:1024
	s_wait_dscnt 0x0
	v_cmp_lt_i32_e32 vcc_lo, v10, v5
	v_dual_cndmask_b32 v8, v9, v8 :: v_dual_add_nc_u32 v11, 1, v9
	v_cndmask_b32_e32 v7, v7, v11, vcc_lo
	s_or_b32 exec_lo, exec_lo, s2
	s_delay_alu instid0(SALU_CYCLE_1) | instskip(NEXT) | instid1(VALU_DEP_1)
	s_mov_b32 s2, exec_lo
	v_cmpx_lt_i32_e64 v7, v8
	s_cbranch_execz .LBB27_58
.LBB27_62:
	v_sub_nc_u32_e32 v9, v7, v8
	s_delay_alu instid0(VALU_DEP_1) | instskip(NEXT) | instid1(VALU_DEP_1)
	v_lshl_add_u32 v9, v8, 4, v9
	v_ashrrev_i32_e32 v9, 4, v9
	s_delay_alu instid0(VALU_DEP_1) | instskip(SKIP_4) | instid1(VALU_DEP_1)
	v_lshl_add_u32 v10, v9, 2, s0
	ds_load_b32 v10, v10 offset:1024
	s_wait_dscnt 0x0
	v_cmp_lt_i32_e32 vcc_lo, v10, v5
	v_dual_cndmask_b32 v8, v9, v8 :: v_dual_add_nc_u32 v11, 1, v9
	v_cndmask_b32_e32 v7, v7, v11, vcc_lo
	s_or_b32 exec_lo, exec_lo, s2
	s_delay_alu instid0(SALU_CYCLE_1) | instskip(NEXT) | instid1(VALU_DEP_1)
	s_mov_b32 s2, exec_lo
	v_cmpx_lt_i32_e64 v7, v8
	s_cbranch_execz .LBB27_66
.LBB27_63:
	s_mov_b32 s3, 0
.LBB27_64:                              ; =>This Inner Loop Header: Depth=1
	v_sub_nc_u32_e32 v9, v7, v8
	s_delay_alu instid0(VALU_DEP_1) | instskip(NEXT) | instid1(VALU_DEP_1)
	v_lshl_add_u32 v9, v8, 1, v9
	v_ashrrev_i32_e32 v9, 1, v9
	s_delay_alu instid0(VALU_DEP_1) | instskip(SKIP_4) | instid1(VALU_DEP_1)
	v_lshl_add_u32 v10, v9, 2, s0
	ds_load_b32 v10, v10 offset:1024
	s_wait_dscnt 0x0
	v_cmp_lt_i32_e32 vcc_lo, v10, v5
	v_dual_cndmask_b32 v8, v9, v8 :: v_dual_add_nc_u32 v11, 1, v9
	v_cndmask_b32_e32 v7, v7, v11, vcc_lo
	s_delay_alu instid0(VALU_DEP_1) | instskip(SKIP_1) | instid1(SALU_CYCLE_1)
	v_cmp_ge_i32_e32 vcc_lo, v7, v8
	s_or_b32 s3, vcc_lo, s3
	s_and_not1_b32 exec_lo, exec_lo, s3
	s_cbranch_execnz .LBB27_64
; %bb.65:
	s_or_b32 exec_lo, exec_lo, s3
.LBB27_66:
	s_delay_alu instid0(SALU_CYCLE_1) | instskip(SKIP_2) | instid1(VALU_DEP_1)
	s_or_b32 exec_lo, exec_lo, s2
	v_dual_sub_nc_u32 v0, v0, v2 :: v_dual_sub_nc_u32 v9, v6, v7
	s_mov_b32 s0, exec_lo
	v_add_nc_u32_e32 v8, v9, v0
	s_delay_alu instid0(VALU_DEP_1) | instskip(NEXT) | instid1(VALU_DEP_1)
	v_ashrrev_i32_e32 v0, 1, v8
	v_max_i32_e32 v0, v0, v9
	s_delay_alu instid0(VALU_DEP_1) | instskip(NEXT) | instid1(VALU_DEP_1)
	v_add_nc_u32_e32 v7, v7, v0
	v_add_min_i32_e64 v7, v7, 1, v26
	s_delay_alu instid0(VALU_DEP_1) | instskip(NEXT) | instid1(VALU_DEP_1)
	v_dual_mov_b32 v6, 0 :: v_dual_sub_nc_u32 v7, v7, v6
	v_cmpx_lt_i32_e32 0, v7
	s_cbranch_execz .LBB27_70
; %bb.67:
	v_mov_b32_e32 v6, 0
	s_mov_b32 s2, 0
.LBB27_68:                              ; =>This Inner Loop Header: Depth=1
	s_delay_alu instid0(VALU_DEP_1) | instskip(NEXT) | instid1(VALU_DEP_1)
	v_add_nc_u32_e32 v10, v6, v7
	v_lshrrev_b32_e32 v10, 1, v10
	s_delay_alu instid0(VALU_DEP_1) | instskip(SKIP_4) | instid1(VALU_DEP_1)
	v_lshl_add_u32 v11, v10, 2, v4
	ds_load_b32 v11, v11 offset:1024
	s_wait_dscnt 0x0
	v_cmp_lt_i32_e32 vcc_lo, v5, v11
	v_dual_cndmask_b32 v7, v7, v10 :: v_dual_add_nc_u32 v12, 1, v10
	v_cndmask_b32_e32 v6, v12, v6, vcc_lo
	s_delay_alu instid0(VALU_DEP_1) | instskip(SKIP_1) | instid1(SALU_CYCLE_1)
	v_cmp_ge_i32_e32 vcc_lo, v6, v7
	s_or_b32 s2, vcc_lo, s2
	s_and_not1_b32 exec_lo, exec_lo, s2
	s_cbranch_execnz .LBB27_68
; %bb.69:
	s_or_b32 exec_lo, exec_lo, s2
.LBB27_70:
	s_delay_alu instid0(SALU_CYCLE_1) | instskip(NEXT) | instid1(VALU_DEP_2)
	s_or_b32 exec_lo, exec_lo, s0
	v_add_nc_u32_e32 v4, v6, v9
	s_wait_dscnt 0x0
	s_delay_alu instid0(VALU_DEP_1) | instskip(SKIP_1) | instid1(VALU_DEP_2)
	v_min_i32_e32 v5, v4, v0
	v_cmp_lt_i32_e32 vcc_lo, v0, v4
	v_dual_sub_nc_u32 v6, v8, v5 :: v_dual_add_nc_u32 v5, 1, v5
	s_delay_alu instid0(VALU_DEP_1) | instskip(NEXT) | instid1(VALU_DEP_2)
	v_add_nc_u32_e32 v0, v6, v2
	v_cmp_eq_u32_e64 s0, v6, v5
	s_and_b32 s0, vcc_lo, s0
	s_delay_alu instid0(SALU_CYCLE_1)
	v_cndmask_b32_e64 v4, 0, 1, s0
.LBB27_71:
	s_or_b32 exec_lo, exec_lo, s1
	s_lshl_b32 s0, s44, 16
	s_delay_alu instid0(VALU_DEP_1) | instid1(SALU_CYCLE_1)
	v_dual_add_nc_u32 v1, v4, v1 :: v_dual_bitop2_b32 v2, s0, v26 bitop3:0x54
	v_sub_co_u32 v5, s0, v16, 1
	s_delay_alu instid0(VALU_DEP_2) | instskip(NEXT) | instid1(VALU_DEP_2)
	v_sub_nc_u32_e32 v7, v1, v0
	v_cndmask_b32_e64 v5, v5, 0xff, s0
	s_delay_alu instid0(VALU_DEP_2) | instskip(NEXT) | instid1(VALU_DEP_1)
	v_lshl_or_b32 v4, v0, 16, v7
	v_dual_lshlrev_b32 v8, 2, v5 :: v_dual_cndmask_b32 v4, v4, v2, s0
	v_dual_add_nc_u32 v2, s44, v7 :: v_dual_lshlrev_b32 v6, 2, v0
	ds_store_b32 v8, v4 offset:18432
	v_lshlrev_b32_e32 v5, 2, v2
	s_wait_dscnt 0x0
	s_barrier_signal -1
	s_barrier_wait -1
	ds_load_b32 v4, v3
	ds_load_b32 v27, v6 offset:19456
	ds_load_b32 v28, v5 offset:19456
	s_wait_dscnt 0x2
	v_and_b32_e32 v3, 0xffff, v4
	s_wait_dscnt 0x1
	v_mov_b32_e32 v29, v27
	s_wait_dscnt 0x0
	v_cmp_lt_i32_e32 vcc_lo, v28, v27
	v_cmp_le_i32_e64 s1, v3, v7
	v_cndmask_b32_e64 v8, 0, 1, vcc_lo
	v_ashrrev_i32_e32 v4, 16, v4
	s_delay_alu instid0(VALU_DEP_1) | instskip(NEXT) | instid1(VALU_DEP_1)
	v_cmp_le_i32_e64 s3, v4, v0
	v_cndmask_b32_e64 v7, 0, 1, s3
	s_or_b32 s2, s3, s1
	s_delay_alu instid0(VALU_DEP_1) | instid1(SALU_CYCLE_1)
	v_cndmask_b32_e64 v7, v8, v7, s2
	s_delay_alu instid0(VALU_DEP_1) | instskip(NEXT) | instid1(VALU_DEP_1)
	v_and_b32_e32 v7, 1, v7
	v_cmp_eq_u32_e32 vcc_lo, 1, v7
	s_xor_b32 s5, vcc_lo, -1
	s_delay_alu instid0(SALU_CYCLE_1)
	s_and_saveexec_b32 s4, s5
; %bb.72:
	v_add_nc_u32_e32 v6, 0x4800, v6
	v_add_nc_u32_e32 v0, 1, v0
	ds_load_b32 v29, v6 offset:1028
; %bb.73:
	s_or_b32 exec_lo, exec_lo, s4
	s_xor_b32 s4, s3, -1
	v_cmp_lt_i32_e64 s3, v27, v28
	s_and_b32 s1, s1, s4
	v_mov_b32_e32 v30, v28
	v_cndmask_b32_e64 v7, 0, 1, s1
	v_cndmask_b32_e64 v6, 0, 1, s3
	s_delay_alu instid0(VALU_DEP_1) | instskip(NEXT) | instid1(VALU_DEP_1)
	v_cndmask_b32_e64 v6, v6, v7, s2
	v_and_b32_e32 v6, 1, v6
	s_delay_alu instid0(VALU_DEP_1) | instskip(SKIP_1) | instid1(SALU_CYCLE_1)
	v_cmp_eq_u32_e64 s1, 1, v6
	s_xor_b32 s3, s1, -1
	s_and_saveexec_b32 s2, s3
; %bb.74:
	v_add_nc_u32_e32 v5, 0x4800, v5
	v_add_nc_u32_e32 v2, 1, v2
	ds_load_b32 v30, v5 offset:1028
; %bb.75:
	s_or_b32 exec_lo, exec_lo, s2
	s_wait_dscnt 0x0
	v_cmp_lt_i32_e64 s4, v30, v29
	v_cmp_ge_i32_e64 s2, v0, v4
	v_mov_b32_e32 v31, v29
	s_delay_alu instid0(VALU_DEP_3) | instskip(SKIP_1) | instid1(VALU_DEP_4)
	v_cndmask_b32_e64 v5, 0, 1, s4
	v_add_nc_u32_e32 v7, s44, v3
	v_cndmask_b32_e64 v3, 0, 1, s2
	s_delay_alu instid0(VALU_DEP_2) | instskip(SKIP_1) | instid1(SALU_CYCLE_1)
	v_cmp_ge_i32_e64 s3, v2, v7
	s_or_b32 s4, s2, s3
	v_cndmask_b32_e64 v3, v5, v3, s4
	s_delay_alu instid0(VALU_DEP_1) | instskip(NEXT) | instid1(VALU_DEP_1)
	v_and_b32_e32 v3, 1, v3
	v_cmp_eq_u32_e64 s17, 1, v3
	v_mov_b32_e32 v3, v0
	s_xor_b32 s5, s17, -1
	s_delay_alu instid0(SALU_CYCLE_1)
	s_and_saveexec_b32 s4, s5
; %bb.76:
	v_lshlrev_b32_e32 v3, 2, v0
	ds_load_b32 v31, v3 offset:19460
	v_add_nc_u32_e32 v3, 1, v0
; %bb.77:
	s_or_b32 exec_lo, exec_lo, s4
	v_cmp_lt_i32_e64 s4, v29, v30
	s_xor_b32 s2, s2, -1
	v_dual_mov_b32 v32, v30 :: v_dual_mov_b32 v5, v2
	s_or_b32 s3, s3, s4
	s_delay_alu instid0(SALU_CYCLE_1) | instskip(NEXT) | instid1(SALU_CYCLE_1)
	s_and_b32 s2, s2, s3
	s_xor_b32 s4, s2, -1
	s_delay_alu instid0(SALU_CYCLE_1)
	s_and_saveexec_b32 s3, s4
; %bb.78:
	v_lshlrev_b32_e32 v5, 2, v2
	ds_load_b32 v32, v5 offset:19460
	v_add_nc_u32_e32 v5, 1, v2
; %bb.79:
	s_or_b32 exec_lo, exec_lo, s3
	v_cmp_ge_i32_e64 s4, v3, v4
	s_wait_dscnt 0x0
	v_cmp_lt_i32_e64 s5, v32, v31
	v_cmp_ge_i32_e64 s3, v5, v7
	v_mov_b32_e32 v33, v31
	v_cndmask_b32_e64 v6, 0, 1, s4
	s_delay_alu instid0(VALU_DEP_4)
	v_cndmask_b32_e64 v8, 0, 1, s5
	s_or_b32 s5, s4, s3
	s_delay_alu instid0(VALU_DEP_1) | instid1(SALU_CYCLE_1)
	v_cndmask_b32_e64 v6, v8, v6, s5
	s_delay_alu instid0(VALU_DEP_1) | instskip(NEXT) | instid1(VALU_DEP_1)
	v_and_b32_e32 v6, 1, v6
	v_cmp_eq_u32_e64 s18, 1, v6
	v_mov_b32_e32 v6, v3
	s_xor_b32 s6, s18, -1
	s_delay_alu instid0(SALU_CYCLE_1)
	s_and_saveexec_b32 s5, s6
; %bb.80:
	v_lshlrev_b32_e32 v6, 2, v3
	ds_load_b32 v33, v6 offset:19460
	v_add_nc_u32_e32 v6, 1, v3
; %bb.81:
	s_or_b32 exec_lo, exec_lo, s5
	v_cmp_lt_i32_e64 s5, v31, v32
	s_xor_b32 s4, s4, -1
	v_dual_mov_b32 v34, v32 :: v_dual_mov_b32 v8, v5
	s_or_b32 s3, s3, s5
	s_delay_alu instid0(SALU_CYCLE_1) | instskip(NEXT) | instid1(SALU_CYCLE_1)
	s_and_b32 s3, s4, s3
	s_xor_b32 s5, s3, -1
	s_delay_alu instid0(SALU_CYCLE_1)
	s_and_saveexec_b32 s4, s5
; %bb.82:
	v_lshlrev_b32_e32 v8, 2, v5
	ds_load_b32 v34, v8 offset:19460
	v_add_nc_u32_e32 v8, 1, v5
; %bb.83:
	s_or_b32 exec_lo, exec_lo, s4
	v_cmp_ge_i32_e64 s5, v6, v4
	s_wait_dscnt 0x0
	v_cmp_lt_i32_e64 s6, v34, v33
	v_cmp_ge_i32_e64 s4, v8, v7
	v_mov_b32_e32 v35, v33
	v_cndmask_b32_e64 v9, 0, 1, s5
	s_delay_alu instid0(VALU_DEP_4)
	v_cndmask_b32_e64 v10, 0, 1, s6
	s_or_b32 s6, s5, s4
	s_delay_alu instid0(VALU_DEP_1) | instid1(SALU_CYCLE_1)
	;; [unrolled: 39-line block ×6, first 2 shown]
	v_cndmask_b32_e64 v23, v24, v23, s10
	s_delay_alu instid0(VALU_DEP_1) | instskip(NEXT) | instid1(VALU_DEP_1)
	v_and_b32_e32 v23, 1, v23
	v_cmp_eq_u32_e64 s23, 1, v23
	v_mov_b32_e32 v23, v15
	s_xor_b32 s11, s23, -1
	s_delay_alu instid0(SALU_CYCLE_1)
	s_and_saveexec_b32 s10, s11
; %bb.100:
	v_lshlrev_b32_e32 v23, 2, v15
	ds_load_b32 v43, v23 offset:19460
	v_add_nc_u32_e32 v23, 1, v15
; %bb.101:
	s_or_b32 exec_lo, exec_lo, s10
	v_cmp_lt_i32_e64 s10, v41, v42
	s_xor_b32 s9, s9, -1
	v_dual_mov_b32 v44, v42 :: v_dual_mov_b32 v24, v22
	s_or_b32 s8, s8, s10
	s_delay_alu instid0(SALU_CYCLE_1) | instskip(NEXT) | instid1(SALU_CYCLE_1)
	s_and_b32 s8, s9, s8
	s_xor_b32 s10, s8, -1
	s_delay_alu instid0(SALU_CYCLE_1)
	s_and_saveexec_b32 s9, s10
; %bb.102:
	v_lshlrev_b32_e32 v24, 2, v22
	ds_load_b32 v44, v24 offset:19460
	v_add_nc_u32_e32 v24, 1, v22
; %bb.103:
	s_or_b32 exec_lo, exec_lo, s9
	v_cmp_ge_i32_e64 s10, v23, v4
	s_wait_dscnt 0x0
	v_cmp_lt_i32_e64 s11, v44, v43
	v_cmp_ge_i32_e64 s9, v24, v7
	s_delay_alu instid0(VALU_DEP_3) | instskip(NEXT) | instid1(VALU_DEP_3)
	v_cndmask_b32_e64 v25, 0, 1, s10
	v_cndmask_b32_e64 v45, 0, 1, s11
	s_or_b32 s11, s10, s9
	s_delay_alu instid0(VALU_DEP_1) | instid1(SALU_CYCLE_1)
	v_dual_cndmask_b32 v25, v45, v25, s11 :: v_dual_mov_b32 v45, v43
	s_delay_alu instid0(VALU_DEP_1) | instskip(NEXT) | instid1(VALU_DEP_1)
	v_and_b32_e32 v25, 1, v25
	v_cmp_eq_u32_e64 s24, 1, v25
	v_mov_b32_e32 v25, v23
	s_xor_b32 s12, s24, -1
	s_delay_alu instid0(SALU_CYCLE_1)
	s_and_saveexec_b32 s11, s12
; %bb.104:
	v_lshlrev_b32_e32 v25, 2, v23
	ds_load_b32 v45, v25 offset:19460
	v_add_nc_u32_e32 v25, 1, v23
; %bb.105:
	s_or_b32 exec_lo, exec_lo, s11
	v_cmp_lt_i32_e64 s11, v43, v44
	s_xor_b32 s10, s10, -1
	v_dual_mov_b32 v46, v44 :: v_dual_mov_b32 v59, v24
	s_or_b32 s9, s9, s11
	s_delay_alu instid0(SALU_CYCLE_1) | instskip(NEXT) | instid1(SALU_CYCLE_1)
	s_and_b32 s9, s10, s9
	s_xor_b32 s11, s9, -1
	s_delay_alu instid0(SALU_CYCLE_1)
	s_and_saveexec_b32 s10, s11
; %bb.106:
	v_dual_lshlrev_b32 v46, 2, v24 :: v_dual_add_nc_u32 v59, 1, v24
	ds_load_b32 v46, v46 offset:19460
; %bb.107:
	s_or_b32 exec_lo, exec_lo, s10
	v_cmp_ge_i32_e64 s11, v25, v4
	s_wait_dscnt 0x0
	v_cmp_lt_i32_e64 s12, v46, v45
	v_cmp_ge_i32_e64 s10, v59, v7
	v_mov_b32_e32 v60, v25
	v_cndmask_b32_e64 v47, 0, 1, s11
	s_delay_alu instid0(VALU_DEP_4)
	v_cndmask_b32_e64 v48, 0, 1, s12
	s_or_b32 s12, s11, s10
	s_delay_alu instid0(VALU_DEP_1) | instid1(SALU_CYCLE_1)
	v_cndmask_b32_e64 v47, v48, v47, s12
	s_delay_alu instid0(VALU_DEP_1) | instskip(NEXT) | instid1(VALU_DEP_1)
	v_and_b32_e32 v47, 1, v47
	v_cmp_eq_u32_e64 s25, 1, v47
	v_mov_b32_e32 v47, v45
	s_xor_b32 s13, s25, -1
	s_delay_alu instid0(SALU_CYCLE_1)
	s_and_saveexec_b32 s12, s13
; %bb.108:
	v_dual_lshlrev_b32 v47, 2, v25 :: v_dual_add_nc_u32 v60, 1, v25
	ds_load_b32 v47, v47 offset:19460
; %bb.109:
	s_or_b32 exec_lo, exec_lo, s12
	v_cmp_lt_i32_e64 s12, v45, v46
	s_xor_b32 s11, s11, -1
	v_dual_mov_b32 v48, v46 :: v_dual_mov_b32 v61, v59
	s_or_b32 s10, s10, s12
	s_delay_alu instid0(SALU_CYCLE_1) | instskip(NEXT) | instid1(SALU_CYCLE_1)
	s_and_b32 s10, s11, s10
	s_xor_b32 s12, s10, -1
	s_delay_alu instid0(SALU_CYCLE_1)
	s_and_saveexec_b32 s11, s12
; %bb.110:
	v_dual_lshlrev_b32 v48, 2, v59 :: v_dual_add_nc_u32 v61, 1, v59
	ds_load_b32 v48, v48 offset:19460
; %bb.111:
	s_or_b32 exec_lo, exec_lo, s11
	v_cmp_ge_i32_e64 s12, v60, v4
	s_wait_dscnt 0x0
	v_cmp_lt_i32_e64 s13, v48, v47
	v_cmp_ge_i32_e64 s11, v61, v7
	v_mov_b32_e32 v62, v60
	v_cndmask_b32_e64 v49, 0, 1, s12
	s_delay_alu instid0(VALU_DEP_4)
	v_cndmask_b32_e64 v50, 0, 1, s13
	s_or_b32 s13, s12, s11
	s_delay_alu instid0(VALU_DEP_1) | instid1(SALU_CYCLE_1)
	v_cndmask_b32_e64 v49, v50, v49, s13
	s_delay_alu instid0(VALU_DEP_1) | instskip(NEXT) | instid1(VALU_DEP_1)
	v_and_b32_e32 v49, 1, v49
	v_cmp_eq_u32_e64 s26, 1, v49
	v_mov_b32_e32 v49, v47
	s_xor_b32 s14, s26, -1
	s_delay_alu instid0(SALU_CYCLE_1)
	s_and_saveexec_b32 s13, s14
; %bb.112:
	v_dual_lshlrev_b32 v49, 2, v60 :: v_dual_add_nc_u32 v62, 1, v60
	ds_load_b32 v49, v49 offset:19460
	;; [unrolled: 37-line block ×6, first 2 shown]
; %bb.129:
	s_or_b32 exec_lo, exec_lo, s31
	v_cmp_lt_i32_e64 s31, v55, v56
	s_xor_b32 s16, s16, -1
	v_dual_mov_b32 v58, v56 :: v_dual_mov_b32 v71, v69
	s_or_b32 s15, s15, s31
	s_delay_alu instid0(SALU_CYCLE_1) | instskip(NEXT) | instid1(SALU_CYCLE_1)
	s_and_b32 s15, s16, s15
	s_xor_b32 s31, s15, -1
	s_delay_alu instid0(SALU_CYCLE_1)
	s_and_saveexec_b32 s16, s31
; %bb.130:
	v_dual_lshlrev_b32 v58, 2, v69 :: v_dual_add_nc_u32 v71, 1, v69
	ds_load_b32 v58, v58 offset:19460
; %bb.131:
	s_or_b32 exec_lo, exec_lo, s16
	v_cmp_ge_i32_e64 s31, v70, v4
	s_wait_dscnt 0x0
	v_cmp_lt_i32_e64 s33, v58, v57
	v_cmp_ge_i32_e64 s16, v71, v7
	v_add_nc_u32_e32 v64, v65, v64
	v_add_nc_u32_e32 v60, v61, v60
	v_cndmask_b32_e64 v72, 0, 1, s31
	v_cndmask_b32_e64 v73, 0, 1, s33
	s_or_b32 s31, s31, s16
	v_cmp_lt_i32_e64 s33, v57, v58
	s_xor_b32 s50, s28, s13
	v_dual_add_nc_u32 v23, v24, v23 :: v_dual_cndmask_b32 v72, v73, v72, s31
	v_cmp_lt_i32_e64 s31, v70, v4
	v_add_nc_u32_e32 v4, v7, v4
	v_dual_add_nc_u32 v7, v69, v68 :: v_dual_add_nc_u32 v13, v14, v13
	s_or_b32 s16, s16, s33
	v_add_nc_u32_e32 v70, v71, v70
	s_and_b32 s16, s31, s16
	s_delay_alu instid0(VALU_DEP_2) | instskip(SKIP_3) | instid1(VALU_DEP_3)
	v_cmp_lt_i32_e64 s31, v7, v4
	v_dual_add_nc_u32 v7, v63, v62 :: v_dual_bitop2_b32 v71, 1, v72 bitop3:0x40
	v_dual_add_nc_u32 v66, v67, v66 :: v_dual_add_nc_u32 v3, v5, v3
	v_add_nc_u32_e32 v0, v2, v0
	v_cmp_lt_i32_e64 s28, v7, v4
	v_add_nc_u32_e32 v7, v59, v25
	v_cmp_eq_u32_e64 s34, 1, v71
	s_xor_b32 s52, s26, s11
	v_cmp_lt_i32_e64 s36, v3, v4
	v_add_nc_u32_e32 v1, s44, v1
	v_cmp_lt_i32_e64 s26, v7, v4
	v_dual_add_nc_u32 v7, v22, v15 :: v_dual_add_nc_u32 v6, v8, v6
	s_xor_b32 s57, s19, s4
	s_xor_b32 s19, s18, s3
	;; [unrolled: 1-line block ×3, first 2 shown]
	v_add_nc_u32_e32 v11, v12, v11
	v_cmp_lt_i32_e64 s34, v7, v4
	v_add_nc_u32_e32 v7, v10, v9
	v_cmp_lt_i32_e64 s18, v0, v4
	s_and_b32 s36, s36, s19
	v_cmp_lt_i32_e64 s19, v1, v4
	s_xor_b32 s17, s17, s2
	s_xor_b32 s46, vcc_lo, s1
	s_xor_b32 s55, s21, s6
	v_cmp_lt_i32_e64 s21, v7, v4
	s_xor_b32 s56, s20, s5
	v_cmp_lt_i32_e64 s20, v6, v4
	s_and_b32 s45, s18, s17
	s_and_b32 s46, s19, s46
	v_cndmask_b32_e64 v0, 0, 4, s36
	v_cndmask_b32_e64 v1, 0, 2, s45
	;; [unrolled: 1-line block ×3, first 2 shown]
	v_cmp_lt_i32_e64 s35, v13, v4
	s_xor_b32 s54, s22, s7
	v_cmp_lt_i32_e64 s22, v11, v4
	s_and_b32 s21, s21, s56
	s_and_b32 s20, s20, s57
	v_cmp_lt_i32_e64 s33, v70, v4
	s_xor_b32 s48, s30, s15
	v_cmp_lt_i32_e64 s30, v66, v4
	s_xor_b32 s49, s29, s14
	v_cmp_lt_i32_e64 s29, v64, v4
	s_xor_b32 s51, s27, s12
	v_cmp_lt_i32_e64 s27, v60, v4
	s_xor_b32 s53, s25, s10
	v_cmp_lt_i32_e64 s25, v23, v4
	v_cndmask_b32_e64 v3, 0, 16, s21
	v_cndmask_b32_e64 v4, 0, 8, s20
	v_or3_b32 v0, v1, v2, v0
	s_and_b32 s17, s35, s54
	s_and_b32 s19, s22, s55
	v_cndmask_b32_e64 v1, 0, 64, s17
	v_cndmask_b32_e64 v2, 0, 32, s19
	v_or3_b32 v0, v0, v4, v3
	s_xor_b32 s17, s23, s8
	s_xor_b32 s18, s24, s9
	s_and_b32 s17, s34, s17
	v_mov_b32_e32 v9, 0
	v_cndmask_b32_e64 v3, 0, 0x80, s17
	v_or3_b32 v64, v0, v2, v1
	s_and_b32 s17, s26, s53
	s_delay_alu instid0(SALU_CYCLE_1) | instskip(SKIP_1) | instid1(VALU_DEP_2)
	v_cndmask_b32_e64 v0, 0, 0x200, s17
	s_and_b32 s17, s25, s18
	v_or_b32_e32 v63, v3, v64
	v_cndmask_b32_e64 v1, 0, 0x100, s17
	s_and_b32 s17, s28, s51
	s_barrier_signal -1
	v_cndmask_b32_e64 v2, 0, 0x800, s17
	s_and_b32 s17, s27, s52
	v_or3_b32 v62, v1, v0, v63
	v_cndmask_b32_e64 v3, 0, 0x400, s17
	s_and_b32 s17, s30, s49
	s_barrier_wait -1
	v_cndmask_b32_e64 v0, 0, 0x2000, s17
	s_and_b32 s17, s29, s50
	v_or3_b32 v61, v3, v2, v62
	v_cndmask_b32_e64 v1, 0, 0x1000, s17
	s_and_b32 s17, s33, s47
	s_delay_alu instid0(SALU_CYCLE_1) | instskip(SKIP_1) | instid1(VALU_DEP_2)
	v_cndmask_b32_e64 v2, 0, 0x8000, s17
	s_and_b32 s17, s31, s48
	v_or3_b32 v60, v1, v0, v61
	v_cndmask_b32_e64 v3, 0, 0x4000, s17
	s_cmp_lg_u32 s37, 0
	s_delay_alu instid0(VALU_DEP_1) | instskip(NEXT) | instid1(VALU_DEP_1)
	v_or3_b32 v59, v3, v2, v60
	v_bcnt_u32_b32 v8, v59, 0
	s_cbranch_scc0 .LBB27_188
; %bb.132:
	v_mbcnt_lo_u32_b32 v65, -1, 0
	s_delay_alu instid0(VALU_DEP_2) | instskip(SKIP_2) | instid1(VALU_DEP_4)
	v_mov_b64_e32 v[2:3], v[8:9]
	v_mov_b32_dpp v4, v8 row_shr:1 row_mask:0xf bank_mask:0xf
	v_mov_b32_dpp v7, v9 row_shr:1 row_mask:0xf bank_mask:0xf
	v_dual_mov_b32 v5, v9 :: v_dual_bitop2_b32 v10, 15, v65 bitop3:0x40
	v_mov_b32_e32 v0, v8
	s_mov_b32 s17, exec_lo
	s_delay_alu instid0(VALU_DEP_2)
	v_cmpx_ne_u32_e32 0, v10
; %bb.133:
	v_mov_b32_e32 v6, 0
	s_delay_alu instid0(VALU_DEP_1) | instskip(NEXT) | instid1(VALU_DEP_1)
	v_mov_b32_e32 v5, v6
	v_add_nc_u64_e32 v[0:1], v[4:5], v[8:9]
	s_delay_alu instid0(VALU_DEP_1) | instskip(NEXT) | instid1(VALU_DEP_1)
	v_add_nc_u64_e32 v[4:5], v[6:7], v[0:1]
	v_mov_b64_e32 v[2:3], v[4:5]
; %bb.134:
	s_or_b32 exec_lo, exec_lo, s17
	v_mov_b32_dpp v4, v0 row_shr:2 row_mask:0xf bank_mask:0xf
	v_mov_b32_dpp v7, v5 row_shr:2 row_mask:0xf bank_mask:0xf
	s_mov_b32 s17, exec_lo
	v_cmpx_lt_u32_e32 1, v10
; %bb.135:
	v_mov_b32_e32 v6, 0
	s_delay_alu instid0(VALU_DEP_1) | instskip(NEXT) | instid1(VALU_DEP_1)
	v_mov_b32_e32 v5, v6
	v_add_nc_u64_e32 v[0:1], v[2:3], v[4:5]
	s_delay_alu instid0(VALU_DEP_1) | instskip(NEXT) | instid1(VALU_DEP_1)
	v_add_nc_u64_e32 v[4:5], v[6:7], v[0:1]
	v_mov_b64_e32 v[2:3], v[4:5]
; %bb.136:
	s_or_b32 exec_lo, exec_lo, s17
	v_mov_b32_dpp v4, v0 row_shr:4 row_mask:0xf bank_mask:0xf
	v_mov_b32_dpp v7, v5 row_shr:4 row_mask:0xf bank_mask:0xf
	s_mov_b32 s17, exec_lo
	v_cmpx_lt_u32_e32 3, v10
	;; [unrolled: 14-line block ×3, first 2 shown]
; %bb.139:
	v_mov_b32_e32 v6, 0
	s_delay_alu instid0(VALU_DEP_1) | instskip(NEXT) | instid1(VALU_DEP_1)
	v_mov_b32_e32 v5, v6
	v_add_nc_u64_e32 v[0:1], v[2:3], v[4:5]
	s_delay_alu instid0(VALU_DEP_1) | instskip(NEXT) | instid1(VALU_DEP_1)
	v_add_nc_u64_e32 v[2:3], v[6:7], v[0:1]
	v_mov_b32_e32 v5, v3
; %bb.140:
	s_or_b32 exec_lo, exec_lo, s17
	ds_swizzle_b32 v4, v0 offset:swizzle(BROADCAST,32,15)
	ds_swizzle_b32 v7, v5 offset:swizzle(BROADCAST,32,15)
	v_and_b32_e32 v1, 16, v65
	s_mov_b32 s17, exec_lo
	s_delay_alu instid0(VALU_DEP_1)
	v_cmpx_ne_u32_e32 0, v1
	s_cbranch_execz .LBB27_142
; %bb.141:
	v_mov_b32_e32 v6, 0
	s_delay_alu instid0(VALU_DEP_1) | instskip(SKIP_1) | instid1(VALU_DEP_1)
	v_mov_b32_e32 v5, v6
	s_wait_dscnt 0x1
	v_add_nc_u64_e32 v[0:1], v[2:3], v[4:5]
	s_wait_dscnt 0x0
	s_delay_alu instid0(VALU_DEP_1)
	v_add_nc_u64_e32 v[2:3], v[6:7], v[0:1]
.LBB27_142:
	s_or_b32 exec_lo, exec_lo, s17
	v_and_b32_e32 v1, 0x3e0, v16
	s_wait_dscnt 0x1
	v_lshrrev_b32_e32 v4, 5, v16
	s_delay_alu instid0(VALU_DEP_2) | instskip(NEXT) | instid1(VALU_DEP_1)
	v_min_u32_e32 v1, 0xe0, v1
	v_or_b32_e32 v1, 31, v1
	s_delay_alu instid0(VALU_DEP_1) | instskip(NEXT) | instid1(VALU_DEP_4)
	v_cmp_eq_u32_e32 vcc_lo, v16, v1
	v_lshlrev_b32_e32 v1, 3, v4
	s_and_saveexec_b32 s17, vcc_lo
; %bb.143:
	ds_store_b64 v1, v[2:3] offset:18432
; %bb.144:
	s_or_b32 exec_lo, exec_lo, s17
	s_delay_alu instid0(SALU_CYCLE_1)
	s_mov_b32 s17, exec_lo
	s_wait_dscnt 0x0
	s_barrier_signal -1
	s_barrier_wait -1
	v_cmpx_gt_u32_e32 8, v16
	s_cbranch_execz .LBB27_152
; %bb.145:
	v_dual_lshlrev_b32 v13, 3, v16 :: v_dual_bitop2_b32 v12, 7, v65 bitop3:0x40
	s_mov_b32 s18, exec_lo
	ds_load_b64 v[2:3], v13 offset:18432
	s_wait_dscnt 0x0
	v_mov_b32_dpp v6, v2 row_shr:1 row_mask:0xf bank_mask:0xf
	v_mov_b32_dpp v11, v3 row_shr:1 row_mask:0xf bank_mask:0xf
	v_mov_b32_e32 v4, v2
	v_cmpx_ne_u32_e32 0, v12
; %bb.146:
	v_mov_b32_e32 v10, 0
	s_delay_alu instid0(VALU_DEP_1) | instskip(NEXT) | instid1(VALU_DEP_1)
	v_mov_b32_e32 v7, v10
	v_add_nc_u64_e32 v[4:5], v[2:3], v[6:7]
	s_delay_alu instid0(VALU_DEP_1)
	v_add_nc_u64_e32 v[2:3], v[10:11], v[4:5]
; %bb.147:
	s_or_b32 exec_lo, exec_lo, s18
	v_mov_b32_dpp v6, v4 row_shr:2 row_mask:0xf bank_mask:0xf
	s_delay_alu instid0(VALU_DEP_2)
	v_mov_b32_dpp v11, v3 row_shr:2 row_mask:0xf bank_mask:0xf
	s_mov_b32 s18, exec_lo
	v_cmpx_lt_u32_e32 1, v12
; %bb.148:
	v_mov_b32_e32 v10, 0
	s_delay_alu instid0(VALU_DEP_1) | instskip(NEXT) | instid1(VALU_DEP_1)
	v_mov_b32_e32 v7, v10
	v_add_nc_u64_e32 v[4:5], v[2:3], v[6:7]
	s_delay_alu instid0(VALU_DEP_1)
	v_add_nc_u64_e32 v[2:3], v[10:11], v[4:5]
; %bb.149:
	s_or_b32 exec_lo, exec_lo, s18
	v_add_nc_u32_e32 v10, 0x4800, v13
	v_mov_b32_dpp v4, v4 row_shr:4 row_mask:0xf bank_mask:0xf
	s_delay_alu instid0(VALU_DEP_3)
	v_mov_b32_dpp v7, v3 row_shr:4 row_mask:0xf bank_mask:0xf
	s_mov_b32 s18, exec_lo
	v_cmpx_lt_u32_e32 3, v12
; %bb.150:
	v_mov_b32_e32 v6, 0
	s_delay_alu instid0(VALU_DEP_1) | instskip(NEXT) | instid1(VALU_DEP_1)
	v_mov_b32_e32 v5, v6
	v_add_nc_u64_e32 v[2:3], v[2:3], v[4:5]
	s_delay_alu instid0(VALU_DEP_1)
	v_add_nc_u64_e32 v[2:3], v[2:3], v[6:7]
; %bb.151:
	s_or_b32 exec_lo, exec_lo, s18
	ds_store_b64 v10, v[2:3]
.LBB27_152:
	s_or_b32 exec_lo, exec_lo, s17
	s_delay_alu instid0(SALU_CYCLE_1)
	s_mov_b32 s18, exec_lo
	v_cmp_gt_u32_e32 vcc_lo, 32, v16
	s_wait_dscnt 0x0
	s_barrier_signal -1
	s_barrier_wait -1
                                        ; implicit-def: $vgpr10_vgpr11
	v_cmpx_lt_u32_e32 31, v16
	s_cbranch_execz .LBB27_154
; %bb.153:
	ds_load_b64 v[10:11], v1 offset:18424
	s_wait_dscnt 0x0
	v_add_nc_u32_e32 v0, v0, v10
.LBB27_154:
	s_or_b32 exec_lo, exec_lo, s18
	v_sub_co_u32 v1, s17, v65, 1
	s_delay_alu instid0(VALU_DEP_1) | instskip(NEXT) | instid1(VALU_DEP_1)
	v_cmp_gt_i32_e64 s18, 0, v1
	v_cndmask_b32_e64 v1, v1, v65, s18
	s_delay_alu instid0(VALU_DEP_1)
	v_lshlrev_b32_e32 v1, 2, v1
	ds_bpermute_b32 v66, v1, v0
	s_and_saveexec_b32 s18, vcc_lo
	s_cbranch_execz .LBB27_193
; %bb.155:
	v_mov_b32_e32 v3, 0
	ds_load_b64 v[0:1], v3 offset:18488
	s_and_saveexec_b32 s22, s17
	s_cbranch_execz .LBB27_157
; %bb.156:
	s_add_co_i32 s24, s37, 32
	s_mov_b32 s25, 0
	v_mov_b32_e32 v2, 1
	s_lshl_b64 s[24:25], s[24:25], 4
	s_delay_alu instid0(SALU_CYCLE_1) | instskip(NEXT) | instid1(SALU_CYCLE_1)
	s_add_nc_u64 s[24:25], s[40:41], s[24:25]
	v_mov_b64_e32 v[4:5], s[24:25]
	s_wait_dscnt 0x0
	;;#ASMSTART
	global_store_b128 v[4:5], v[0:3] off scope:SCOPE_DEV	
s_wait_storecnt 0x0
	;;#ASMEND
.LBB27_157:
	s_or_b32 exec_lo, exec_lo, s22
	v_xad_u32 v12, v65, -1, s37
	s_mov_b32 s23, 0
	s_mov_b32 s22, exec_lo
	s_delay_alu instid0(VALU_DEP_1) | instskip(NEXT) | instid1(VALU_DEP_1)
	v_add_nc_u32_e32 v2, 32, v12
	v_lshl_add_u64 v[2:3], v[2:3], 4, s[40:41]
	;;#ASMSTART
	global_load_b128 v[4:7], v[2:3] off scope:SCOPE_DEV	
s_wait_loadcnt 0x0
	;;#ASMEND
	v_and_b32_e32 v7, 0xff, v6
	s_delay_alu instid0(VALU_DEP_1)
	v_cmpx_eq_u16_e32 0, v7
	s_cbranch_execz .LBB27_160
.LBB27_158:                             ; =>This Inner Loop Header: Depth=1
	;;#ASMSTART
	global_load_b128 v[4:7], v[2:3] off scope:SCOPE_DEV	
s_wait_loadcnt 0x0
	;;#ASMEND
	v_and_b32_e32 v7, 0xff, v6
	s_delay_alu instid0(VALU_DEP_1) | instskip(SKIP_1) | instid1(SALU_CYCLE_1)
	v_cmp_ne_u16_e32 vcc_lo, 0, v7
	s_or_b32 s23, vcc_lo, s23
	s_and_not1_b32 exec_lo, exec_lo, s23
	s_cbranch_execnz .LBB27_158
; %bb.159:
	s_or_b32 exec_lo, exec_lo, s23
.LBB27_160:
	s_delay_alu instid0(SALU_CYCLE_1)
	s_or_b32 exec_lo, exec_lo, s22
	v_cmp_ne_u32_e32 vcc_lo, 31, v65
	v_and_b32_e32 v3, 0xff, v6
	v_lshlrev_b32_e64 v68, v65, -1
	s_mov_b32 s22, exec_lo
	v_add_co_ci_u32_e64 v2, null, 0, v65, vcc_lo
	s_delay_alu instid0(VALU_DEP_3) | instskip(NEXT) | instid1(VALU_DEP_2)
	v_cmp_eq_u16_e32 vcc_lo, 2, v3
	v_lshlrev_b32_e32 v67, 2, v2
	v_and_or_b32 v2, vcc_lo, v68, 0x80000000
	s_delay_alu instid0(VALU_DEP_1)
	v_ctz_i32_b32_e32 v7, v2
	v_mov_b32_e32 v2, v4
	ds_bpermute_b32 v14, v67, v4
	ds_bpermute_b32 v23, v67, v5
	v_cmpx_lt_u32_e64 v65, v7
	s_cbranch_execz .LBB27_162
; %bb.161:
	v_mov_b32_e32 v22, 0
	s_delay_alu instid0(VALU_DEP_1) | instskip(SKIP_1) | instid1(VALU_DEP_1)
	v_mov_b32_e32 v15, v22
	s_wait_dscnt 0x1
	v_add_nc_u64_e32 v[2:3], v[4:5], v[14:15]
	s_wait_dscnt 0x0
	s_delay_alu instid0(VALU_DEP_1)
	v_add_nc_u64_e32 v[4:5], v[22:23], v[2:3]
.LBB27_162:
	s_or_b32 exec_lo, exec_lo, s22
	v_cmp_gt_u32_e32 vcc_lo, 30, v65
	v_add_nc_u32_e32 v70, 2, v65
	s_mov_b32 s22, exec_lo
	v_cndmask_b32_e64 v3, 0, 2, vcc_lo
	s_delay_alu instid0(VALU_DEP_1)
	v_add_lshl_u32 v69, v3, v65, 2
	s_wait_dscnt 0x1
	ds_bpermute_b32 v14, v69, v2
	s_wait_dscnt 0x1
	ds_bpermute_b32 v23, v69, v5
	v_cmpx_le_u32_e64 v70, v7
	s_cbranch_execz .LBB27_164
; %bb.163:
	v_mov_b32_e32 v22, 0
	s_delay_alu instid0(VALU_DEP_1) | instskip(SKIP_1) | instid1(VALU_DEP_1)
	v_mov_b32_e32 v15, v22
	s_wait_dscnt 0x1
	v_add_nc_u64_e32 v[2:3], v[4:5], v[14:15]
	s_wait_dscnt 0x0
	s_delay_alu instid0(VALU_DEP_1)
	v_add_nc_u64_e32 v[4:5], v[22:23], v[2:3]
.LBB27_164:
	s_or_b32 exec_lo, exec_lo, s22
	v_cmp_gt_u32_e32 vcc_lo, 28, v65
	v_add_nc_u32_e32 v72, 4, v65
	s_mov_b32 s22, exec_lo
	v_cndmask_b32_e64 v3, 0, 4, vcc_lo
	s_delay_alu instid0(VALU_DEP_1)
	v_add_lshl_u32 v71, v3, v65, 2
	s_wait_dscnt 0x1
	ds_bpermute_b32 v14, v71, v2
	s_wait_dscnt 0x1
	ds_bpermute_b32 v23, v71, v5
	v_cmpx_le_u32_e64 v72, v7
	;; [unrolled: 23-line block ×3, first 2 shown]
	s_cbranch_execz .LBB27_168
; %bb.167:
	v_mov_b32_e32 v22, 0
	s_delay_alu instid0(VALU_DEP_1) | instskip(SKIP_1) | instid1(VALU_DEP_1)
	v_mov_b32_e32 v15, v22
	s_wait_dscnt 0x1
	v_add_nc_u64_e32 v[2:3], v[4:5], v[14:15]
	s_wait_dscnt 0x0
	s_delay_alu instid0(VALU_DEP_1)
	v_add_nc_u64_e32 v[4:5], v[22:23], v[2:3]
.LBB27_168:
	s_or_b32 exec_lo, exec_lo, s22
	v_lshl_or_b32 v75, v65, 2, 64
	v_add_nc_u32_e32 v76, 16, v65
	s_mov_b32 s22, exec_lo
	ds_bpermute_b32 v2, v75, v2
	ds_bpermute_b32 v15, v75, v5
	v_cmpx_le_u32_e64 v76, v7
	s_cbranch_execz .LBB27_170
; %bb.169:
	s_wait_dscnt 0x3
	v_mov_b32_e32 v14, 0
	s_delay_alu instid0(VALU_DEP_1) | instskip(SKIP_1) | instid1(VALU_DEP_1)
	v_mov_b32_e32 v3, v14
	s_wait_dscnt 0x1
	v_add_nc_u64_e32 v[2:3], v[4:5], v[2:3]
	s_wait_dscnt 0x0
	s_delay_alu instid0(VALU_DEP_1)
	v_add_nc_u64_e32 v[4:5], v[2:3], v[14:15]
.LBB27_170:
	s_or_b32 exec_lo, exec_lo, s22
	v_mov_b32_e32 v13, 0
	s_branch .LBB27_173
.LBB27_171:                             ;   in Loop: Header=BB27_173 Depth=1
	s_or_b32 exec_lo, exec_lo, s22
	s_delay_alu instid0(VALU_DEP_1)
	v_add_nc_u64_e32 v[4:5], v[4:5], v[2:3]
	v_subrev_nc_u32_e32 v12, 32, v12
	s_mov_b32 s22, 0
.LBB27_172:                             ;   in Loop: Header=BB27_173 Depth=1
	s_delay_alu instid0(SALU_CYCLE_1)
	s_and_b32 vcc_lo, exec_lo, s22
	s_cbranch_vccnz .LBB27_189
.LBB27_173:                             ; =>This Loop Header: Depth=1
                                        ;     Child Loop BB27_176 Depth 2
	s_wait_dscnt 0x1
	v_and_b32_e32 v2, 0xff, v6
	s_mov_b32 s22, -1
	s_delay_alu instid0(VALU_DEP_1)
	v_cmp_ne_u16_e32 vcc_lo, 2, v2
	v_mov_b64_e32 v[2:3], v[4:5]
                                        ; implicit-def: $vgpr4_vgpr5
	s_cmp_lg_u32 vcc_lo, exec_lo
	s_cbranch_scc1 .LBB27_172
; %bb.174:                              ;   in Loop: Header=BB27_173 Depth=1
	s_wait_dscnt 0x0
	v_lshl_add_u64 v[14:15], v[12:13], 4, s[40:41]
	;;#ASMSTART
	global_load_b128 v[4:7], v[14:15] off scope:SCOPE_DEV	
s_wait_loadcnt 0x0
	;;#ASMEND
	v_and_b32_e32 v7, 0xff, v6
	s_mov_b32 s22, exec_lo
	s_delay_alu instid0(VALU_DEP_1)
	v_cmpx_eq_u16_e32 0, v7
	s_cbranch_execz .LBB27_178
; %bb.175:                              ;   in Loop: Header=BB27_173 Depth=1
	s_mov_b32 s23, 0
.LBB27_176:                             ;   Parent Loop BB27_173 Depth=1
                                        ; =>  This Inner Loop Header: Depth=2
	;;#ASMSTART
	global_load_b128 v[4:7], v[14:15] off scope:SCOPE_DEV	
s_wait_loadcnt 0x0
	;;#ASMEND
	v_and_b32_e32 v7, 0xff, v6
	s_delay_alu instid0(VALU_DEP_1) | instskip(SKIP_1) | instid1(SALU_CYCLE_1)
	v_cmp_ne_u16_e32 vcc_lo, 0, v7
	s_or_b32 s23, vcc_lo, s23
	s_and_not1_b32 exec_lo, exec_lo, s23
	s_cbranch_execnz .LBB27_176
; %bb.177:                              ;   in Loop: Header=BB27_173 Depth=1
	s_or_b32 exec_lo, exec_lo, s23
.LBB27_178:                             ;   in Loop: Header=BB27_173 Depth=1
	s_delay_alu instid0(SALU_CYCLE_1)
	s_or_b32 exec_lo, exec_lo, s22
	v_and_b32_e32 v7, 0xff, v6
	ds_bpermute_b32 v22, v67, v4
	ds_bpermute_b32 v25, v67, v5
	v_mov_b32_e32 v14, v4
	s_mov_b32 s22, exec_lo
	v_cmp_eq_u16_e32 vcc_lo, 2, v7
	v_and_or_b32 v7, vcc_lo, v68, 0x80000000
	s_delay_alu instid0(VALU_DEP_1) | instskip(NEXT) | instid1(VALU_DEP_1)
	v_ctz_i32_b32_e32 v7, v7
	v_cmpx_lt_u32_e64 v65, v7
	s_cbranch_execz .LBB27_180
; %bb.179:                              ;   in Loop: Header=BB27_173 Depth=1
	v_dual_mov_b32 v23, v13 :: v_dual_mov_b32 v24, v13
	s_wait_dscnt 0x1
	s_delay_alu instid0(VALU_DEP_1) | instskip(SKIP_1) | instid1(VALU_DEP_1)
	v_add_nc_u64_e32 v[14:15], v[4:5], v[22:23]
	s_wait_dscnt 0x0
	v_add_nc_u64_e32 v[4:5], v[24:25], v[14:15]
.LBB27_180:                             ;   in Loop: Header=BB27_173 Depth=1
	s_or_b32 exec_lo, exec_lo, s22
	ds_bpermute_b32 v24, v69, v14
	ds_bpermute_b32 v23, v69, v5
	s_mov_b32 s22, exec_lo
	v_cmpx_le_u32_e64 v70, v7
	s_cbranch_execz .LBB27_182
; %bb.181:                              ;   in Loop: Header=BB27_173 Depth=1
	s_wait_dscnt 0x2
	v_dual_mov_b32 v25, v13 :: v_dual_mov_b32 v22, v13
	s_wait_dscnt 0x1
	s_delay_alu instid0(VALU_DEP_1) | instskip(SKIP_1) | instid1(VALU_DEP_1)
	v_add_nc_u64_e32 v[14:15], v[4:5], v[24:25]
	s_wait_dscnt 0x0
	v_add_nc_u64_e32 v[4:5], v[22:23], v[14:15]
.LBB27_182:                             ;   in Loop: Header=BB27_173 Depth=1
	s_or_b32 exec_lo, exec_lo, s22
	s_wait_dscnt 0x1
	ds_bpermute_b32 v24, v71, v14
	s_wait_dscnt 0x1
	ds_bpermute_b32 v23, v71, v5
	s_mov_b32 s22, exec_lo
	v_cmpx_le_u32_e64 v72, v7
	s_cbranch_execz .LBB27_184
; %bb.183:                              ;   in Loop: Header=BB27_173 Depth=1
	v_dual_mov_b32 v25, v13 :: v_dual_mov_b32 v22, v13
	s_wait_dscnt 0x1
	s_delay_alu instid0(VALU_DEP_1) | instskip(SKIP_1) | instid1(VALU_DEP_1)
	v_add_nc_u64_e32 v[14:15], v[4:5], v[24:25]
	s_wait_dscnt 0x0
	v_add_nc_u64_e32 v[4:5], v[22:23], v[14:15]
.LBB27_184:                             ;   in Loop: Header=BB27_173 Depth=1
	s_or_b32 exec_lo, exec_lo, s22
	s_wait_dscnt 0x1
	ds_bpermute_b32 v24, v73, v14
	s_wait_dscnt 0x1
	ds_bpermute_b32 v23, v73, v5
	s_mov_b32 s22, exec_lo
	v_cmpx_le_u32_e64 v74, v7
	s_cbranch_execz .LBB27_186
; %bb.185:                              ;   in Loop: Header=BB27_173 Depth=1
	v_dual_mov_b32 v25, v13 :: v_dual_mov_b32 v22, v13
	s_wait_dscnt 0x1
	s_delay_alu instid0(VALU_DEP_1) | instskip(SKIP_1) | instid1(VALU_DEP_1)
	v_add_nc_u64_e32 v[14:15], v[4:5], v[24:25]
	s_wait_dscnt 0x0
	v_add_nc_u64_e32 v[4:5], v[22:23], v[14:15]
.LBB27_186:                             ;   in Loop: Header=BB27_173 Depth=1
	s_or_b32 exec_lo, exec_lo, s22
	ds_bpermute_b32 v22, v75, v14
	ds_bpermute_b32 v15, v75, v5
	s_mov_b32 s22, exec_lo
	v_cmpx_le_u32_e64 v76, v7
	s_cbranch_execz .LBB27_171
; %bb.187:                              ;   in Loop: Header=BB27_173 Depth=1
	s_wait_dscnt 0x2
	v_dual_mov_b32 v23, v13 :: v_dual_mov_b32 v14, v13
	s_wait_dscnt 0x1
	s_delay_alu instid0(VALU_DEP_1) | instskip(SKIP_1) | instid1(VALU_DEP_1)
	v_add_nc_u64_e32 v[4:5], v[4:5], v[22:23]
	s_wait_dscnt 0x0
	v_add_nc_u64_e32 v[4:5], v[4:5], v[14:15]
	s_branch .LBB27_171
.LBB27_188:
                                        ; implicit-def: $vgpr0_vgpr1
                                        ; implicit-def: $vgpr4_vgpr5
	s_movk_i32 s17, 0x4840
	s_cbranch_execnz .LBB27_194
	s_branch .LBB27_217
.LBB27_189:
	s_and_saveexec_b32 s22, s17
	s_cbranch_execz .LBB27_191
; %bb.190:
	s_add_co_i32 s24, s37, 32
	s_mov_b32 s25, 0
	v_dual_mov_b32 v6, 2 :: v_dual_mov_b32 v7, 0
	s_lshl_b64 s[24:25], s[24:25], 4
	v_add_nc_u64_e32 v[4:5], v[2:3], v[0:1]
	s_add_nc_u64 s[24:25], s[40:41], s[24:25]
	s_delay_alu instid0(SALU_CYCLE_1)
	v_mov_b64_e32 v[12:13], s[24:25]
	;;#ASMSTART
	global_store_b128 v[12:13], v[4:7] off scope:SCOPE_DEV	
s_wait_storecnt 0x0
	;;#ASMEND
	ds_store_b128 v7, v[0:3] offset:18496
.LBB27_191:
	s_or_b32 exec_lo, exec_lo, s22
	s_delay_alu instid0(SALU_CYCLE_1)
	s_and_b32 exec_lo, exec_lo, s0
; %bb.192:
	v_mov_b32_e32 v0, 0
	ds_store_b64 v0, v[2:3] offset:18488
.LBB27_193:
	s_or_b32 exec_lo, exec_lo, s18
	v_dual_mov_b32 v0, 0 :: v_dual_cndmask_b32 v4, 0, v11, s17
	s_wait_dscnt 0x0
	s_barrier_signal -1
	s_barrier_wait -1
	ds_load_b64 v[2:3], v0 offset:18488
	s_wait_dscnt 0x0
	s_barrier_signal -1
	s_barrier_wait -1
	ds_load_b64 v[0:1], v0 offset:18504
	v_cndmask_b32_e64 v6, v66, v10, s17
	v_cndmask_b32_e64 v5, v4, 0, s0
	s_delay_alu instid0(VALU_DEP_2) | instskip(NEXT) | instid1(VALU_DEP_1)
	v_cndmask_b32_e64 v4, v6, 0, s0
	v_add_nc_u64_e32 v[4:5], v[2:3], v[4:5]
	s_movk_i32 s17, 0x4840
	s_branch .LBB27_217
.LBB27_194:
	v_mbcnt_lo_u32_b32 v10, -1, 0
	v_mov_b32_e32 v3, 0
	s_wait_dscnt 0x0
	v_mov_b64_e32 v[0:1], v[8:9]
	v_mov_b32_dpp v2, v8 row_shr:1 row_mask:0xf bank_mask:0xf
	s_mov_b32 s17, exec_lo
	v_and_b32_e32 v6, 15, v10
	v_mov_b32_dpp v5, v3 row_shr:1 row_mask:0xf bank_mask:0xf
	s_delay_alu instid0(VALU_DEP_2)
	v_cmpx_ne_u32_e32 0, v6
; %bb.195:
	v_mov_b32_e32 v4, 0
	s_delay_alu instid0(VALU_DEP_1) | instskip(NEXT) | instid1(VALU_DEP_1)
	v_mov_b32_e32 v3, v4
	v_add_nc_u64_e32 v[8:9], v[2:3], v[8:9]
	s_delay_alu instid0(VALU_DEP_1) | instskip(NEXT) | instid1(VALU_DEP_1)
	v_add_nc_u64_e32 v[2:3], v[4:5], v[8:9]
	v_mov_b64_e32 v[0:1], v[2:3]
; %bb.196:
	s_or_b32 exec_lo, exec_lo, s17
	v_mov_b32_dpp v2, v8 row_shr:2 row_mask:0xf bank_mask:0xf
	v_mov_b32_dpp v5, v3 row_shr:2 row_mask:0xf bank_mask:0xf
	s_mov_b32 s17, exec_lo
	v_cmpx_lt_u32_e32 1, v6
; %bb.197:
	v_mov_b32_e32 v4, 0
	s_delay_alu instid0(VALU_DEP_1) | instskip(NEXT) | instid1(VALU_DEP_1)
	v_mov_b32_e32 v3, v4
	v_add_nc_u64_e32 v[8:9], v[0:1], v[2:3]
	s_delay_alu instid0(VALU_DEP_1) | instskip(NEXT) | instid1(VALU_DEP_1)
	v_add_nc_u64_e32 v[2:3], v[4:5], v[8:9]
	v_mov_b64_e32 v[0:1], v[2:3]
; %bb.198:
	s_or_b32 exec_lo, exec_lo, s17
	v_mov_b32_dpp v2, v8 row_shr:4 row_mask:0xf bank_mask:0xf
	v_mov_b32_dpp v5, v3 row_shr:4 row_mask:0xf bank_mask:0xf
	s_mov_b32 s17, exec_lo
	v_cmpx_lt_u32_e32 3, v6
	;; [unrolled: 14-line block ×3, first 2 shown]
; %bb.201:
	v_mov_b32_e32 v4, 0
	s_delay_alu instid0(VALU_DEP_1) | instskip(NEXT) | instid1(VALU_DEP_1)
	v_mov_b32_e32 v3, v4
	v_add_nc_u64_e32 v[8:9], v[0:1], v[2:3]
	s_delay_alu instid0(VALU_DEP_1) | instskip(NEXT) | instid1(VALU_DEP_1)
	v_add_nc_u64_e32 v[0:1], v[4:5], v[8:9]
	v_mov_b32_e32 v3, v1
; %bb.202:
	s_or_b32 exec_lo, exec_lo, s17
	ds_swizzle_b32 v2, v8 offset:swizzle(BROADCAST,32,15)
	ds_swizzle_b32 v5, v3 offset:swizzle(BROADCAST,32,15)
	v_and_b32_e32 v3, 16, v10
	s_mov_b32 s17, exec_lo
	s_delay_alu instid0(VALU_DEP_1)
	v_cmpx_ne_u32_e32 0, v3
	s_cbranch_execz .LBB27_204
; %bb.203:
	v_mov_b32_e32 v4, 0
	s_delay_alu instid0(VALU_DEP_1) | instskip(SKIP_1) | instid1(VALU_DEP_1)
	v_mov_b32_e32 v3, v4
	s_wait_dscnt 0x1
	v_add_nc_u64_e32 v[8:9], v[0:1], v[2:3]
	s_wait_dscnt 0x0
	s_delay_alu instid0(VALU_DEP_1)
	v_add_nc_u64_e32 v[0:1], v[4:5], v[8:9]
.LBB27_204:
	s_or_b32 exec_lo, exec_lo, s17
	s_wait_dscnt 0x1
	v_and_b32_e32 v2, 0x3e0, v16
	s_mov_b32 s17, exec_lo
	v_lshrrev_b32_e32 v3, 5, v16
	s_delay_alu instid0(VALU_DEP_2) | instskip(NEXT) | instid1(VALU_DEP_1)
	v_min_u32_e32 v2, 0xe0, v2
	v_dual_lshlrev_b32 v9, 3, v3 :: v_dual_bitop2_b32 v2, 31, v2 bitop3:0x54
	s_delay_alu instid0(VALU_DEP_1)
	v_cmpx_eq_u32_e64 v16, v2
; %bb.205:
	ds_store_b64 v9, v[0:1] offset:18432
; %bb.206:
	s_or_b32 exec_lo, exec_lo, s17
	s_delay_alu instid0(SALU_CYCLE_1)
	s_mov_b32 s17, exec_lo
	s_wait_dscnt 0x0
	s_barrier_signal -1
	s_barrier_wait -1
	v_cmpx_gt_u32_e32 8, v16
	s_cbranch_execz .LBB27_214
; %bb.207:
	v_dual_lshlrev_b32 v12, 3, v16 :: v_dual_bitop2_b32 v11, 7, v10 bitop3:0x40
	s_mov_b32 s18, exec_lo
	ds_load_b64 v[0:1], v12 offset:18432
	s_wait_dscnt 0x0
	v_mov_b32_dpp v4, v0 row_shr:1 row_mask:0xf bank_mask:0xf
	v_mov_b32_dpp v7, v1 row_shr:1 row_mask:0xf bank_mask:0xf
	v_mov_b32_e32 v2, v0
	v_cmpx_ne_u32_e32 0, v11
; %bb.208:
	v_mov_b32_e32 v6, 0
	s_delay_alu instid0(VALU_DEP_1) | instskip(NEXT) | instid1(VALU_DEP_1)
	v_mov_b32_e32 v5, v6
	v_add_nc_u64_e32 v[2:3], v[0:1], v[4:5]
	s_delay_alu instid0(VALU_DEP_1)
	v_add_nc_u64_e32 v[0:1], v[6:7], v[2:3]
; %bb.209:
	s_or_b32 exec_lo, exec_lo, s18
	v_mov_b32_dpp v4, v2 row_shr:2 row_mask:0xf bank_mask:0xf
	s_delay_alu instid0(VALU_DEP_2)
	v_mov_b32_dpp v7, v1 row_shr:2 row_mask:0xf bank_mask:0xf
	s_mov_b32 s18, exec_lo
	v_cmpx_lt_u32_e32 1, v11
; %bb.210:
	v_mov_b32_e32 v6, 0
	s_delay_alu instid0(VALU_DEP_1) | instskip(NEXT) | instid1(VALU_DEP_1)
	v_mov_b32_e32 v5, v6
	v_add_nc_u64_e32 v[2:3], v[0:1], v[4:5]
	s_delay_alu instid0(VALU_DEP_1)
	v_add_nc_u64_e32 v[0:1], v[6:7], v[2:3]
; %bb.211:
	s_or_b32 exec_lo, exec_lo, s18
	v_add_nc_u32_e32 v6, 0x4800, v12
	v_mov_b32_dpp v2, v2 row_shr:4 row_mask:0xf bank_mask:0xf
	s_delay_alu instid0(VALU_DEP_3)
	v_mov_b32_dpp v5, v1 row_shr:4 row_mask:0xf bank_mask:0xf
	s_mov_b32 s18, exec_lo
	v_cmpx_lt_u32_e32 3, v11
; %bb.212:
	v_mov_b32_e32 v4, 0
	s_delay_alu instid0(VALU_DEP_1) | instskip(NEXT) | instid1(VALU_DEP_1)
	v_mov_b32_e32 v3, v4
	v_add_nc_u64_e32 v[0:1], v[0:1], v[2:3]
	s_delay_alu instid0(VALU_DEP_1)
	v_add_nc_u64_e32 v[0:1], v[0:1], v[4:5]
; %bb.213:
	s_or_b32 exec_lo, exec_lo, s18
	ds_store_b64 v6, v[0:1]
.LBB27_214:
	s_or_b32 exec_lo, exec_lo, s17
	v_mov_b64_e32 v[0:1], 0
	v_mov_b64_e32 v[2:3], 0
	s_mov_b32 s17, exec_lo
	s_wait_dscnt 0x0
	s_barrier_signal -1
	s_barrier_wait -1
	v_cmpx_lt_u32_e32 31, v16
; %bb.215:
	ds_load_b64 v[2:3], v9 offset:18424
; %bb.216:
	s_or_b32 exec_lo, exec_lo, s17
	s_wait_dscnt 0x0
	v_sub_co_u32 v3, vcc_lo, v10, 1
	s_delay_alu instid0(VALU_DEP_1) | instskip(NEXT) | instid1(VALU_DEP_1)
	v_cmp_gt_i32_e64 s17, 0, v3
	v_cndmask_b32_e64 v3, v3, v10, s17
	v_add_nc_u32_e32 v4, v8, v2
	s_movk_i32 s17, 0x4838
	s_delay_alu instid0(VALU_DEP_2)
	v_lshlrev_b32_e32 v3, 2, v3
	ds_bpermute_b32 v3, v3, v4
	s_wait_dscnt 0x0
	v_cndmask_b32_e32 v4, v3, v2, vcc_lo
.LBB27_217:
	s_wait_dscnt 0x0
	s_delay_alu instid0(VALU_DEP_1)
	v_dual_mov_b32 v2, s17 :: v_dual_sub_nc_u32 v4, v4, v0
	ds_load_b64 v[2:3], v2
	s_wait_dscnt 0x0
	s_barrier_signal -1
	s_barrier_wait -1
	s_and_saveexec_b32 s17, s46
	s_cbranch_execnz .LBB27_268
; %bb.218:
	s_or_b32 exec_lo, exec_lo, s17
	s_and_saveexec_b32 s1, s45
	s_cbranch_execnz .LBB27_269
.LBB27_219:
	s_or_b32 exec_lo, exec_lo, s1
	s_and_saveexec_b32 s1, s36
	s_cbranch_execnz .LBB27_270
.LBB27_220:
	s_or_b32 exec_lo, exec_lo, s1
	s_and_saveexec_b32 s1, s20
	s_cbranch_execnz .LBB27_271
.LBB27_221:
	s_or_b32 exec_lo, exec_lo, s1
	s_and_saveexec_b32 s1, s21
	s_cbranch_execnz .LBB27_272
.LBB27_222:
	s_or_b32 exec_lo, exec_lo, s1
	s_and_saveexec_b32 s1, s19
.LBB27_223:
	v_dual_cndmask_b32 v5, v38, v37, s6 :: v_dual_lshlrev_b32 v6, 2, v4
	v_add_nc_u32_e32 v4, 1, v4
	ds_store_b32 v6, v5 offset:19456
.LBB27_224:
	s_or_b32 exec_lo, exec_lo, s1
	v_and_b32_e32 v5, 64, v64
	s_mov_b32 s1, exec_lo
	s_delay_alu instid0(VALU_DEP_1)
	v_cmpx_ne_u32_e32 0, v5
; %bb.225:
	v_dual_cndmask_b32 v5, v40, v39, s7 :: v_dual_lshlrev_b32 v6, 2, v4
	v_add_nc_u32_e32 v4, 1, v4
	ds_store_b32 v6, v5 offset:19456
; %bb.226:
	s_or_b32 exec_lo, exec_lo, s1
	v_and_b32_e32 v5, 0x80, v63
	s_mov_b32 s1, exec_lo
	s_delay_alu instid0(VALU_DEP_1)
	v_cmpx_ne_u32_e32 0, v5
; %bb.227:
	v_dual_cndmask_b32 v5, v42, v41, s8 :: v_dual_lshlrev_b32 v6, 2, v4
	v_add_nc_u32_e32 v4, 1, v4
	ds_store_b32 v6, v5 offset:19456
; %bb.228:
	;; [unrolled: 10-line block ×9, first 2 shown]
	s_or_b32 exec_lo, exec_lo, s1
	v_and_b32_e32 v5, 0x8000, v59
	s_mov_b32 s1, exec_lo
	s_delay_alu instid0(VALU_DEP_1)
	v_cmpx_ne_u32_e32 0, v5
; %bb.243:
	v_dual_cndmask_b32 v5, v58, v57, s16 :: v_dual_lshlrev_b32 v4, 2, v4
	ds_store_b32 v4, v5 offset:19456
; %bb.244:
	s_or_b32 exec_lo, exec_lo, s1
	s_delay_alu instid0(SALU_CYCLE_1)
	s_mov_b32 s1, exec_lo
	s_wait_dscnt 0x0
	s_barrier_signal -1
	s_barrier_wait -1
	v_cmpx_lt_i32_e64 v16, v2
	s_cbranch_execz .LBB27_252
; %bb.245:
	v_lshlrev_b64_e32 v[4:5], 2, v[0:1]
	v_xad_u32 v7, v16, -1, v2
	v_mov_b32_e32 v6, v16
	s_mov_b32 s3, -1
	s_mov_b32 s2, exec_lo
	s_delay_alu instid0(VALU_DEP_2)
	v_cmpx_lt_u32_e32 0xff, v7
	s_cbranch_execz .LBB27_249
; %bb.246:
	v_dual_mov_b32 v9, 0 :: v_dual_lshrrev_b32 v6, 8, v7
	v_mov_b64_e32 v[10:11], v[16:17]
	v_lshl_add_u32 v14, v16, 2, 0x4c00
	s_mov_b32 s3, 0
	s_delay_alu instid0(VALU_DEP_3) | instskip(SKIP_1) | instid1(VALU_DEP_2)
	v_add_nc_u32_e32 v12, 1, v6
	v_add_nc_u64_e32 v[6:7], s[42:43], v[4:5]
	v_and_b32_e32 v13, 0x1fffffe, v12
	s_delay_alu instid0(VALU_DEP_1)
	v_mov_b32_e32 v15, v13
.LBB27_247:                             ; =>This Inner Loop Header: Depth=1
	ds_load_2addr_stride64_b32 v[22:23], v14 offset1:4
	v_dual_mov_b32 v8, v10 :: v_dual_add_nc_u32 v15, -2, v15
	v_add_nc_u32_e32 v10, 0x200, v10
	v_add_nc_u32_e32 v14, 0x800, v14
	s_delay_alu instid0(VALU_DEP_3) | instskip(SKIP_2) | instid1(VALU_DEP_2)
	v_lshl_add_u64 v[24:25], v[8:9], 2, v[6:7]
	v_dual_mov_b32 v8, v11 :: v_dual_add_nc_u32 v11, 0x200, v11
	v_cmp_eq_u32_e32 vcc_lo, 0, v15
	v_lshl_add_u64 v[28:29], v[8:9], 2, v[6:7]
	s_wait_dscnt 0x0
	s_clause 0x1
	global_store_b32 v[24:25], v22, off
	global_store_b32 v[28:29], v23, off
	s_or_b32 s3, vcc_lo, s3
	s_wait_xcnt 0x0
	s_and_not1_b32 exec_lo, exec_lo, s3
	s_cbranch_execnz .LBB27_247
; %bb.248:
	s_or_b32 exec_lo, exec_lo, s3
	v_cmp_ne_u32_e32 vcc_lo, v12, v13
	v_lshl_add_u32 v6, v13, 8, v16
	s_or_not1_b32 s3, vcc_lo, exec_lo
.LBB27_249:
	s_or_b32 exec_lo, exec_lo, s2
	s_delay_alu instid0(SALU_CYCLE_1)
	s_and_b32 exec_lo, exec_lo, s3
	s_cbranch_execz .LBB27_252
; %bb.250:
	v_add_nc_u64_e32 v[4:5], s[42:43], v[4:5]
	v_mov_b32_e32 v7, 0
	v_lshl_add_u32 v8, v6, 2, 0x4c00
	s_mov_b32 s2, 0
	s_delay_alu instid0(VALU_DEP_2)
	v_lshl_add_u64 v[4:5], v[6:7], 2, v[4:5]
.LBB27_251:                             ; =>This Inner Loop Header: Depth=1
	ds_load_b32 v7, v8
	v_add_nc_u32_e32 v6, 0x100, v6
	v_add_nc_u32_e32 v8, 0x400, v8
	s_delay_alu instid0(VALU_DEP_2)
	v_cmp_ge_i32_e32 vcc_lo, v6, v2
	s_or_b32 s2, vcc_lo, s2
	s_wait_dscnt 0x0
	global_store_b32 v[4:5], v7, off
	s_wait_xcnt 0x0
	v_add_nc_u64_e32 v[4:5], 0x400, v[4:5]
	s_and_not1_b32 exec_lo, exec_lo, s2
	s_cbranch_execnz .LBB27_251
.LBB27_252:
	s_or_b32 exec_lo, exec_lo, s1
	s_and_saveexec_b32 s1, s0
	s_cbranch_execz .LBB27_254
; %bb.253:
	v_add_nc_u64_e32 v[0:1], v[2:3], v[0:1]
	v_mov_b32_e32 v2, 0
	global_store_b64 v2, v[0:1], s[38:39]
.LBB27_254:
	s_wait_xcnt 0x0
	s_or_b32 exec_lo, exec_lo, s1
	s_mov_b32 s0, 0
.LBB27_255:
	s_delay_alu instid0(SALU_CYCLE_1)
	s_and_b32 vcc_lo, exec_lo, s0
	s_cbranch_vccz .LBB27_482
; %bb.256:
	v_dual_mov_b32 v17, 0 :: v_dual_lshlrev_b32 v0, 2, v16
	v_add_nc_u32_e32 v22, 0x100, v16
	v_subrev_nc_u32_e32 v4, s44, v16
	v_cmp_gt_i32_e32 vcc_lo, s44, v16
	s_delay_alu instid0(VALU_DEP_4) | instskip(SKIP_3) | instid1(VALU_DEP_4)
	v_dual_mov_b32 v1, v17 :: v_dual_mov_b32 v5, v17
	v_mov_b32_e32 v7, v17
	v_subrev_nc_u32_e32 v6, s44, v22
	v_cmp_gt_i32_e64 s0, s44, v22
	v_add_nc_u64_e32 v[2:3], v[20:21], v[0:1]
	v_lshl_add_u64 v[4:5], v[4:5], 2, v[18:19]
	v_add_nc_u32_e32 v13, 0x200, v16
	v_lshl_add_u64 v[6:7], v[6:7], 2, v[18:19]
	v_add_nc_u32_e32 v23, 0x300, v16
	v_or_b32_e32 v24, 0x400, v16
	v_add_nc_u32_e32 v27, 0x900, v16
	v_add_nc_u64_e32 v[10:11], 0x400, v[2:3]
	v_dual_mov_b32 v9, v17 :: v_dual_cndmask_b32 v14, v4, v2
	v_subrev_nc_u32_e32 v8, s44, v13
	v_add_nc_u64_e32 v[20:21], 0x800, v[2:3]
	v_cndmask_b32_e32 v15, v5, v3, vcc_lo
	v_cmp_gt_i32_e32 vcc_lo, s44, v13
	v_cndmask_b32_e64 v7, v7, v11, s0
	v_lshl_add_u64 v[8:9], v[8:9], 2, v[18:19]
	v_cndmask_b32_e64 v6, v6, v10, s0
	v_subrev_nc_u32_e32 v12, s44, v23
	v_mov_b32_e32 v13, v17
	global_load_b32 v1, v[14:15], off
	global_load_b32 v4, v[6:7], off
	s_wait_xcnt 0x0
	v_dual_cndmask_b32 v7, v9, v21 :: v_dual_cndmask_b32 v6, v8, v20
	v_add_nc_u64_e32 v[8:9], 0xc00, v[2:3]
	v_lshl_add_u64 v[10:11], v[12:13], 2, v[18:19]
	v_subrev_nc_u32_e32 v12, s44, v24
	v_cmp_gt_i32_e32 vcc_lo, s44, v23
	v_add_nc_u32_e32 v20, 0x500, v16
	v_add_nc_u64_e32 v[14:15], 0x1000, v[2:3]
	v_cmp_gt_i32_e64 s0, s44, v24
	v_lshl_add_u64 v[12:13], v[12:13], 2, v[18:19]
	v_dual_cndmask_b32 v9, v11, v9 :: v_dual_cndmask_b32 v8, v10, v8
	v_subrev_nc_u32_e32 v10, s44, v20
	s_delay_alu instid0(VALU_DEP_3)
	v_dual_mov_b32 v11, v17 :: v_dual_cndmask_b32 v12, v12, v14, s0
	v_cmp_gt_i32_e32 vcc_lo, s44, v20
	global_load_b32 v5, v[6:7], off
	global_load_b32 v6, v[8:9], off
	v_lshl_add_u64 v[10:11], v[10:11], 2, v[18:19]
	v_cndmask_b32_e64 v13, v13, v15, s0
	v_add_nc_u64_e32 v[14:15], 0x1400, v[2:3]
	v_add_nc_u32_e32 v23, 0x700, v16
	v_add_nc_u64_e32 v[24:25], 0x2400, v[2:3]
	v_add_nc_u64_e32 v[28:29], 0x2c00, v[2:3]
	;; [unrolled: 1-line block ×4, first 2 shown]
	v_cmp_gt_i32_e64 s0, s44, v23
	s_wait_xcnt 0x0
	v_dual_cndmask_b32 v9, v11, v15 :: v_dual_cndmask_b32 v8, v10, v14
	v_add_nc_u64_e32 v[10:11], 0x1800, v[2:3]
	v_add_nc_u32_e32 v21, 0x600, v16
	global_load_b32 v7, v[12:13], off
	s_wait_xcnt 0x0
	v_dual_mov_b32 v13, v17 :: v_dual_mov_b32 v15, v17
	v_subrev_nc_u32_e32 v14, s44, v23
	v_subrev_nc_u32_e32 v12, s44, v21
	v_cmp_gt_i32_e32 vcc_lo, s44, v21
	v_add_nc_u64_e32 v[20:21], 0x1c00, v[2:3]
	v_or_b32_e32 v23, 0x800, v16
	v_lshl_add_u64 v[14:15], v[14:15], 2, v[18:19]
	v_lshl_add_u64 v[12:13], v[12:13], 2, v[18:19]
	global_load_b32 v8, v[8:9], off
	v_mov_b32_e32 v35, v17
	v_dual_cndmask_b32 v11, v13, v11, vcc_lo :: v_dual_cndmask_b32 v13, v15, v21, s0
	v_dual_cndmask_b32 v10, v12, v10, vcc_lo :: v_dual_cndmask_b32 v12, v14, v20, s0
	v_mov_b32_e32 v15, v17
	v_subrev_nc_u32_e32 v14, s44, v23
	v_add_nc_u64_e32 v[20:21], 0x2000, v[2:3]
	global_load_b32 v9, v[10:11], off
	global_load_b32 v10, v[12:13], off
	s_wait_xcnt 0x0
	v_subrev_nc_u32_e32 v12, s44, v27
	v_lshl_add_u64 v[14:15], v[14:15], 2, v[18:19]
	v_cmp_gt_i32_e32 vcc_lo, s44, v23
	v_mov_b32_e32 v13, v17
	v_cmp_gt_i32_e64 s0, s44, v27
	v_add_nc_u32_e32 v23, 0xa00, v16
	v_add_nc_u32_e32 v27, 0xe00, v16
	v_cndmask_b32_e32 v15, v15, v21, vcc_lo
	v_lshl_add_u64 v[12:13], v[12:13], 2, v[18:19]
	v_cndmask_b32_e32 v14, v14, v20, vcc_lo
	v_cmp_gt_i32_e32 vcc_lo, s44, v23
	v_subrev_nc_u32_e32 v34, s44, v27
	v_cmp_gt_i32_e64 s1, s44, v27
	v_dual_cndmask_b32 v21, v13, v25, s0 :: v_dual_cndmask_b32 v20, v12, v24, s0
	v_mov_b32_e32 v25, v17
	v_subrev_nc_u32_e32 v24, s44, v23
	v_add_nc_u32_e32 v13, 0xb00, v16
	global_load_b32 v11, v[14:15], off
	global_load_b32 v12, v[20:21], off
	s_wait_xcnt 0x1
	v_add_nc_u64_e32 v[14:15], 0x2800, v[2:3]
	v_or_b32_e32 v23, 0xc00, v16
	s_wait_xcnt 0x0
	v_lshl_add_u64 v[20:21], v[24:25], 2, v[18:19]
	v_subrev_nc_u32_e32 v24, s44, v13
	v_lshl_add_u64 v[34:35], v[34:35], 2, v[18:19]
	s_delay_alu instid0(VALU_DEP_3) | instskip(NEXT) | instid1(VALU_DEP_3)
	v_cndmask_b32_e32 v30, v20, v14, vcc_lo
	v_lshl_add_u64 v[24:25], v[24:25], 2, v[18:19]
	v_cndmask_b32_e32 v31, v21, v15, vcc_lo
	v_cmp_gt_i32_e32 vcc_lo, s44, v13
	v_subrev_nc_u32_e32 v14, s44, v23
	v_mov_b32_e32 v15, v17
	v_add_nc_u64_e32 v[20:21], 0x3000, v[2:3]
	v_add_nc_u32_e32 v13, 0xd00, v16
	v_dual_cndmask_b32 v25, v25, v29 :: v_dual_cndmask_b32 v24, v24, v28
	v_mov_b32_e32 v29, v17
	v_lshl_add_u64 v[14:15], v[14:15], 2, v[18:19]
	v_cmp_gt_i32_e32 vcc_lo, s44, v23
	v_subrev_nc_u32_e32 v28, s44, v13
	v_cmp_gt_i32_e64 s0, s44, v13
	v_dual_cndmask_b32 v35, v35, v39, s1 :: v_dual_cndmask_b32 v34, v34, v38, s1
	v_cndmask_b32_e32 v33, v15, v21, vcc_lo
	s_delay_alu instid0(VALU_DEP_4) | instskip(SKIP_1) | instid1(VALU_DEP_2)
	v_lshl_add_u64 v[28:29], v[28:29], 2, v[18:19]
	v_dual_cndmask_b32 v32, v14, v20 :: v_dual_add_nc_u32 v23, s44, v26
	v_dual_cndmask_b32 v29, v29, v37, s0 :: v_dual_cndmask_b32 v28, v28, v36, s0
	global_load_b32 v15, v[30:31], off
	global_load_b32 v20, v[24:25], off
	;; [unrolled: 1-line block ×5, first 2 shown]
	s_wait_xcnt 0x3
	v_dual_mov_b32 v24, 0 :: v_dual_add_nc_u32 v25, 0xf00, v16
	s_mov_b32 s0, exec_lo
	s_wait_xcnt 0x0
	s_delay_alu instid0(VALU_DEP_1)
	v_cmpx_lt_i32_e64 v25, v23
	s_cbranch_execz .LBB27_258
; %bb.257:
	v_subrev_nc_u32_e32 v28, s44, v25
	v_add_nc_u64_e32 v[2:3], 0x3c00, v[2:3]
	v_cmp_gt_i32_e32 vcc_lo, s44, v25
	v_mov_b32_e32 v29, 0
	s_delay_alu instid0(VALU_DEP_1) | instskip(NEXT) | instid1(VALU_DEP_1)
	v_lshl_add_u64 v[18:19], v[28:29], 2, v[18:19]
	v_dual_cndmask_b32 v3, v19, v3 :: v_dual_cndmask_b32 v2, v18, v2
	global_load_b32 v24, v[2:3], off
.LBB27_258:
	s_wait_xcnt 0x0
	s_or_b32 exec_lo, exec_lo, s0
	v_lshlrev_b32_e32 v2, 4, v16
	s_wait_loadcnt 0xd
	ds_store_2addr_stride64_b32 v0, v1, v4 offset0:4 offset1:8
	s_wait_loadcnt 0xb
	ds_store_2addr_stride64_b32 v0, v5, v6 offset0:12 offset1:16
	s_lshl_b32 s1, s44, 2
	s_mov_b32 s2, 0
	s_mov_b32 s0, exec_lo
	v_min_i32_e32 v2, v23, v2
	s_wait_loadcnt 0x9
	ds_store_2addr_stride64_b32 v0, v7, v8 offset0:20 offset1:24
	s_wait_loadcnt 0x7
	ds_store_2addr_stride64_b32 v0, v9, v10 offset0:28 offset1:32
	;; [unrolled: 2-line block ×6, first 2 shown]
	s_wait_storecnt_dscnt 0x0
	s_barrier_signal -1
	v_sub_nc_u32_e32 v1, v2, v26
	v_min_i32_e32 v3, s44, v2
	s_barrier_wait -1
	s_delay_alu instid0(VALU_DEP_2) | instskip(NEXT) | instid1(VALU_DEP_1)
	v_max_i32_e32 v1, 0, v1
	v_cmpx_lt_i32_e64 v1, v3
	s_cbranch_execz .LBB27_262
; %bb.259:
	v_lshlrev_b32_e32 v4, 2, v2
	s_delay_alu instid0(VALU_DEP_1)
	v_add3_u32 v4, s1, v4, 0x400
.LBB27_260:                             ; =>This Inner Loop Header: Depth=1
	v_add_nc_u32_e32 v5, v3, v1
	s_delay_alu instid0(VALU_DEP_1) | instskip(NEXT) | instid1(VALU_DEP_1)
	v_lshrrev_b32_e32 v5, 1, v5
	v_not_b32_e32 v6, v5
	v_dual_lshlrev_b32 v7, 2, v5 :: v_dual_add_nc_u32 v8, 1, v5
	s_delay_alu instid0(VALU_DEP_2)
	v_lshl_add_u32 v6, v6, 2, v4
	ds_load_b32 v7, v7 offset:1024
	ds_load_b32 v6, v6
	s_wait_dscnt 0x0
	v_cmp_lt_i32_e32 vcc_lo, v6, v7
	v_cndmask_b32_e32 v3, v3, v5, vcc_lo
	v_cndmask_b32_e32 v1, v8, v1, vcc_lo
	s_delay_alu instid0(VALU_DEP_1) | instskip(SKIP_1) | instid1(SALU_CYCLE_1)
	v_cmp_ge_i32_e32 vcc_lo, v1, v3
	s_or_b32 s2, vcc_lo, s2
	s_and_not1_b32 exec_lo, exec_lo, s2
	s_cbranch_execnz .LBB27_260
; %bb.261:
	s_or_b32 exec_lo, exec_lo, s2
.LBB27_262:
	s_delay_alu instid0(SALU_CYCLE_1) | instskip(SKIP_2) | instid1(VALU_DEP_1)
	s_or_b32 exec_lo, exec_lo, s0
	v_dual_sub_nc_u32 v6, v2, v1 :: v_dual_mov_b32 v4, 0
	s_mov_b32 s2, exec_lo
	v_cmpx_lt_i32_e64 v6, v26
	s_cbranch_execz .LBB27_297
; %bb.263:
	v_lshl_add_u32 v4, v6, 2, s1
	v_dual_mov_b32 v3, 0 :: v_dual_mov_b32 v7, 0
	s_mov_b32 s0, exec_lo
	ds_load_b32 v5, v4 offset:1024
	v_cmpx_lt_i32_e32 0, v1
	s_cbranch_execnz .LBB27_273
; %bb.264:
	s_or_b32 exec_lo, exec_lo, s0
	s_delay_alu instid0(SALU_CYCLE_1)
	s_mov_b32 s0, exec_lo
	v_cmpx_lt_i32_e64 v3, v7
	s_cbranch_execnz .LBB27_274
.LBB27_265:
	s_or_b32 exec_lo, exec_lo, s0
	s_delay_alu instid0(SALU_CYCLE_1)
	s_mov_b32 s0, exec_lo
	v_cmpx_lt_i32_e64 v3, v7
	s_cbranch_execnz .LBB27_275
.LBB27_266:
	s_or_b32 exec_lo, exec_lo, s0
	s_delay_alu instid0(SALU_CYCLE_1)
	s_mov_b32 s0, exec_lo
	v_cmpx_lt_i32_e64 v3, v7
	s_cbranch_execnz .LBB27_276
.LBB27_267:
	s_or_b32 exec_lo, exec_lo, s0
	s_delay_alu instid0(SALU_CYCLE_1)
	s_mov_b32 s0, exec_lo
	v_cmpx_lt_i32_e64 v3, v7
	s_cbranch_execnz .LBB27_277
	s_branch .LBB27_280
.LBB27_268:
	v_dual_add_nc_u32 v5, 1, v4 :: v_dual_cndmask_b32 v6, v28, v27, s1
	s_delay_alu instid0(VALU_DEP_1)
	v_dual_mov_b32 v4, v5 :: v_dual_lshlrev_b32 v7, 2, v4
	ds_store_b32 v7, v6 offset:19456
	s_or_b32 exec_lo, exec_lo, s17
	s_and_saveexec_b32 s1, s45
	s_cbranch_execz .LBB27_219
.LBB27_269:
	v_dual_cndmask_b32 v5, v30, v29, s2 :: v_dual_lshlrev_b32 v6, 2, v4
	v_add_nc_u32_e32 v4, 1, v4
	ds_store_b32 v6, v5 offset:19456
	s_or_b32 exec_lo, exec_lo, s1
	s_and_saveexec_b32 s1, s36
	s_cbranch_execz .LBB27_220
.LBB27_270:
	v_dual_cndmask_b32 v5, v32, v31, s3 :: v_dual_lshlrev_b32 v6, 2, v4
	v_add_nc_u32_e32 v4, 1, v4
	ds_store_b32 v6, v5 offset:19456
	s_or_b32 exec_lo, exec_lo, s1
	s_and_saveexec_b32 s1, s20
	s_cbranch_execz .LBB27_221
.LBB27_271:
	v_dual_cndmask_b32 v5, v34, v33, s4 :: v_dual_lshlrev_b32 v6, 2, v4
	v_add_nc_u32_e32 v4, 1, v4
	ds_store_b32 v6, v5 offset:19456
	s_or_b32 exec_lo, exec_lo, s1
	s_and_saveexec_b32 s1, s21
	s_cbranch_execz .LBB27_222
.LBB27_272:
	v_dual_cndmask_b32 v5, v36, v35, s5 :: v_dual_lshlrev_b32 v6, 2, v4
	v_add_nc_u32_e32 v4, 1, v4
	ds_store_b32 v6, v5 offset:19456
	s_or_b32 exec_lo, exec_lo, s1
	s_and_saveexec_b32 s1, s19
	s_cbranch_execnz .LBB27_223
	s_branch .LBB27_224
.LBB27_273:
	v_mul_lo_u32 v3, 0x1ff, v1
	s_delay_alu instid0(VALU_DEP_1) | instskip(NEXT) | instid1(VALU_DEP_1)
	v_ashrrev_i32_e32 v7, 9, v3
	v_dual_lshlrev_b32 v3, 2, v7 :: v_dual_add_nc_u32 v8, 1, v7
	ds_load_b32 v3, v3 offset:1024
	s_wait_dscnt 0x0
	v_cmp_lt_i32_e32 vcc_lo, v3, v5
	v_dual_cndmask_b32 v3, 0, v8, vcc_lo :: v_dual_cndmask_b32 v7, v7, v1, vcc_lo
	s_or_b32 exec_lo, exec_lo, s0
	s_delay_alu instid0(SALU_CYCLE_1) | instskip(NEXT) | instid1(VALU_DEP_1)
	s_mov_b32 s0, exec_lo
	v_cmpx_lt_i32_e64 v3, v7
	s_cbranch_execz .LBB27_265
.LBB27_274:
	v_sub_nc_u32_e32 v8, v3, v7
	s_delay_alu instid0(VALU_DEP_1) | instskip(NEXT) | instid1(VALU_DEP_1)
	v_lshl_add_u32 v8, v7, 7, v8
	v_ashrrev_i32_e32 v8, 7, v8
	s_delay_alu instid0(VALU_DEP_1)
	v_dual_lshlrev_b32 v9, 2, v8 :: v_dual_add_nc_u32 v10, 1, v8
	ds_load_b32 v9, v9 offset:1024
	s_wait_dscnt 0x0
	v_cmp_lt_i32_e32 vcc_lo, v9, v5
	v_dual_cndmask_b32 v3, v3, v10, vcc_lo :: v_dual_cndmask_b32 v7, v8, v7, vcc_lo
	s_or_b32 exec_lo, exec_lo, s0
	s_delay_alu instid0(SALU_CYCLE_1) | instskip(NEXT) | instid1(VALU_DEP_1)
	s_mov_b32 s0, exec_lo
	v_cmpx_lt_i32_e64 v3, v7
	s_cbranch_execz .LBB27_266
.LBB27_275:
	v_sub_nc_u32_e32 v8, v3, v7
	s_delay_alu instid0(VALU_DEP_1) | instskip(NEXT) | instid1(VALU_DEP_1)
	v_lshl_add_u32 v8, v7, 5, v8
	v_ashrrev_i32_e32 v8, 5, v8
	s_delay_alu instid0(VALU_DEP_1)
	v_dual_lshlrev_b32 v9, 2, v8 :: v_dual_add_nc_u32 v10, 1, v8
	ds_load_b32 v9, v9 offset:1024
	s_wait_dscnt 0x0
	v_cmp_lt_i32_e32 vcc_lo, v9, v5
	v_dual_cndmask_b32 v3, v3, v10, vcc_lo :: v_dual_cndmask_b32 v7, v8, v7, vcc_lo
	s_or_b32 exec_lo, exec_lo, s0
	s_delay_alu instid0(SALU_CYCLE_1) | instskip(NEXT) | instid1(VALU_DEP_1)
	s_mov_b32 s0, exec_lo
	v_cmpx_lt_i32_e64 v3, v7
	s_cbranch_execz .LBB27_267
.LBB27_276:
	v_sub_nc_u32_e32 v8, v3, v7
	s_delay_alu instid0(VALU_DEP_1) | instskip(NEXT) | instid1(VALU_DEP_1)
	v_lshl_add_u32 v8, v7, 4, v8
	v_ashrrev_i32_e32 v8, 4, v8
	s_delay_alu instid0(VALU_DEP_1)
	v_dual_lshlrev_b32 v9, 2, v8 :: v_dual_add_nc_u32 v10, 1, v8
	ds_load_b32 v9, v9 offset:1024
	s_wait_dscnt 0x0
	v_cmp_lt_i32_e32 vcc_lo, v9, v5
	v_dual_cndmask_b32 v3, v3, v10, vcc_lo :: v_dual_cndmask_b32 v7, v8, v7, vcc_lo
	s_or_b32 exec_lo, exec_lo, s0
	s_delay_alu instid0(SALU_CYCLE_1) | instskip(NEXT) | instid1(VALU_DEP_1)
	s_mov_b32 s0, exec_lo
	v_cmpx_lt_i32_e64 v3, v7
	s_cbranch_execz .LBB27_280
.LBB27_277:
	s_mov_b32 s3, 0
.LBB27_278:                             ; =>This Inner Loop Header: Depth=1
	v_sub_nc_u32_e32 v8, v3, v7
	s_delay_alu instid0(VALU_DEP_1) | instskip(NEXT) | instid1(VALU_DEP_1)
	v_lshl_add_u32 v8, v7, 1, v8
	v_ashrrev_i32_e32 v8, 1, v8
	s_delay_alu instid0(VALU_DEP_1) | instskip(SKIP_4) | instid1(VALU_DEP_1)
	v_dual_lshlrev_b32 v9, 2, v8 :: v_dual_add_nc_u32 v10, 1, v8
	ds_load_b32 v9, v9 offset:1024
	s_wait_dscnt 0x0
	v_cmp_lt_i32_e32 vcc_lo, v9, v5
	v_dual_cndmask_b32 v3, v3, v10, vcc_lo :: v_dual_cndmask_b32 v7, v8, v7, vcc_lo
	v_cmp_ge_i32_e32 vcc_lo, v3, v7
	s_or_b32 s3, vcc_lo, s3
	s_delay_alu instid0(SALU_CYCLE_1)
	s_and_not1_b32 exec_lo, exec_lo, s3
	s_cbranch_execnz .LBB27_278
; %bb.279:
	s_or_b32 exec_lo, exec_lo, s3
.LBB27_280:
	s_delay_alu instid0(SALU_CYCLE_1)
	s_or_b32 exec_lo, exec_lo, s0
	v_dual_mov_b32 v7, 0 :: v_dual_mov_b32 v8, v6
	s_mov_b32 s0, exec_lo
	v_cmpx_lt_i32_e32 0, v6
	s_cbranch_execnz .LBB27_285
; %bb.281:
	s_or_b32 exec_lo, exec_lo, s0
	s_delay_alu instid0(SALU_CYCLE_1)
	s_mov_b32 s0, exec_lo
	v_cmpx_lt_i32_e64 v7, v8
	s_cbranch_execnz .LBB27_286
.LBB27_282:
	s_or_b32 exec_lo, exec_lo, s0
	s_delay_alu instid0(SALU_CYCLE_1)
	s_mov_b32 s0, exec_lo
	v_cmpx_lt_i32_e64 v7, v8
	s_cbranch_execnz .LBB27_287
.LBB27_283:
	s_or_b32 exec_lo, exec_lo, s0
	s_delay_alu instid0(SALU_CYCLE_1)
	s_mov_b32 s0, exec_lo
	v_cmpx_lt_i32_e64 v7, v8
	s_cbranch_execnz .LBB27_288
.LBB27_284:
	s_or_b32 exec_lo, exec_lo, s0
	s_delay_alu instid0(SALU_CYCLE_1)
	s_mov_b32 s0, exec_lo
	v_cmpx_lt_i32_e64 v7, v8
	s_cbranch_execnz .LBB27_289
	s_branch .LBB27_292
.LBB27_285:
	v_mul_lo_u32 v7, 0x1ff, v6
	s_delay_alu instid0(VALU_DEP_1) | instskip(NEXT) | instid1(VALU_DEP_1)
	v_lshrrev_b32_e32 v8, 9, v7
	v_lshl_add_u32 v7, v8, 2, s1
	ds_load_b32 v7, v7 offset:1024
	s_wait_dscnt 0x0
	v_cmp_lt_i32_e32 vcc_lo, v7, v5
	v_add_nc_u32_e32 v9, 1, v8
	s_delay_alu instid0(VALU_DEP_1) | instskip(SKIP_1) | instid1(SALU_CYCLE_1)
	v_dual_cndmask_b32 v7, 0, v9 :: v_dual_cndmask_b32 v8, v8, v6
	s_or_b32 exec_lo, exec_lo, s0
	s_mov_b32 s0, exec_lo
	s_delay_alu instid0(VALU_DEP_1)
	v_cmpx_lt_i32_e64 v7, v8
	s_cbranch_execz .LBB27_282
.LBB27_286:
	v_sub_nc_u32_e32 v9, v7, v8
	s_delay_alu instid0(VALU_DEP_1) | instskip(NEXT) | instid1(VALU_DEP_1)
	v_lshl_add_u32 v9, v8, 7, v9
	v_ashrrev_i32_e32 v9, 7, v9
	s_delay_alu instid0(VALU_DEP_1) | instskip(SKIP_4) | instid1(VALU_DEP_1)
	v_lshl_add_u32 v10, v9, 2, s1
	ds_load_b32 v10, v10 offset:1024
	s_wait_dscnt 0x0
	v_cmp_lt_i32_e32 vcc_lo, v10, v5
	v_dual_cndmask_b32 v8, v9, v8 :: v_dual_add_nc_u32 v11, 1, v9
	v_cndmask_b32_e32 v7, v7, v11, vcc_lo
	s_or_b32 exec_lo, exec_lo, s0
	s_delay_alu instid0(SALU_CYCLE_1) | instskip(NEXT) | instid1(VALU_DEP_1)
	s_mov_b32 s0, exec_lo
	v_cmpx_lt_i32_e64 v7, v8
	s_cbranch_execz .LBB27_283
.LBB27_287:
	v_sub_nc_u32_e32 v9, v7, v8
	s_delay_alu instid0(VALU_DEP_1) | instskip(NEXT) | instid1(VALU_DEP_1)
	v_lshl_add_u32 v9, v8, 5, v9
	v_ashrrev_i32_e32 v9, 5, v9
	s_delay_alu instid0(VALU_DEP_1) | instskip(SKIP_4) | instid1(VALU_DEP_1)
	v_lshl_add_u32 v10, v9, 2, s1
	ds_load_b32 v10, v10 offset:1024
	s_wait_dscnt 0x0
	v_cmp_lt_i32_e32 vcc_lo, v10, v5
	v_dual_cndmask_b32 v8, v9, v8 :: v_dual_add_nc_u32 v11, 1, v9
	v_cndmask_b32_e32 v7, v7, v11, vcc_lo
	s_or_b32 exec_lo, exec_lo, s0
	s_delay_alu instid0(SALU_CYCLE_1) | instskip(NEXT) | instid1(VALU_DEP_1)
	s_mov_b32 s0, exec_lo
	v_cmpx_lt_i32_e64 v7, v8
	s_cbranch_execz .LBB27_284
.LBB27_288:
	v_sub_nc_u32_e32 v9, v7, v8
	s_delay_alu instid0(VALU_DEP_1) | instskip(NEXT) | instid1(VALU_DEP_1)
	v_lshl_add_u32 v9, v8, 4, v9
	v_ashrrev_i32_e32 v9, 4, v9
	s_delay_alu instid0(VALU_DEP_1) | instskip(SKIP_4) | instid1(VALU_DEP_1)
	v_lshl_add_u32 v10, v9, 2, s1
	ds_load_b32 v10, v10 offset:1024
	s_wait_dscnt 0x0
	v_cmp_lt_i32_e32 vcc_lo, v10, v5
	v_dual_cndmask_b32 v8, v9, v8 :: v_dual_add_nc_u32 v11, 1, v9
	v_cndmask_b32_e32 v7, v7, v11, vcc_lo
	s_or_b32 exec_lo, exec_lo, s0
	s_delay_alu instid0(SALU_CYCLE_1) | instskip(NEXT) | instid1(VALU_DEP_1)
	s_mov_b32 s0, exec_lo
	v_cmpx_lt_i32_e64 v7, v8
	s_cbranch_execz .LBB27_292
.LBB27_289:
	s_mov_b32 s3, 0
.LBB27_290:                             ; =>This Inner Loop Header: Depth=1
	v_sub_nc_u32_e32 v9, v7, v8
	s_delay_alu instid0(VALU_DEP_1) | instskip(NEXT) | instid1(VALU_DEP_1)
	v_lshl_add_u32 v9, v8, 1, v9
	v_ashrrev_i32_e32 v9, 1, v9
	s_delay_alu instid0(VALU_DEP_1) | instskip(SKIP_4) | instid1(VALU_DEP_1)
	v_lshl_add_u32 v10, v9, 2, s1
	ds_load_b32 v10, v10 offset:1024
	s_wait_dscnt 0x0
	v_cmp_lt_i32_e32 vcc_lo, v10, v5
	v_dual_cndmask_b32 v8, v9, v8 :: v_dual_add_nc_u32 v11, 1, v9
	v_cndmask_b32_e32 v7, v7, v11, vcc_lo
	s_delay_alu instid0(VALU_DEP_1) | instskip(SKIP_1) | instid1(SALU_CYCLE_1)
	v_cmp_ge_i32_e32 vcc_lo, v7, v8
	s_or_b32 s3, vcc_lo, s3
	s_and_not1_b32 exec_lo, exec_lo, s3
	s_cbranch_execnz .LBB27_290
; %bb.291:
	s_or_b32 exec_lo, exec_lo, s3
.LBB27_292:
	s_delay_alu instid0(SALU_CYCLE_1) | instskip(SKIP_3) | instid1(VALU_DEP_1)
	s_or_b32 exec_lo, exec_lo, s0
	v_sub_nc_u32_e32 v1, v1, v3
	v_sub_nc_u32_e32 v9, v6, v7
	s_mov_b32 s0, exec_lo
	v_add_nc_u32_e32 v8, v9, v1
	s_delay_alu instid0(VALU_DEP_1) | instskip(NEXT) | instid1(VALU_DEP_1)
	v_ashrrev_i32_e32 v1, 1, v8
	v_max_i32_e32 v1, v1, v9
	s_delay_alu instid0(VALU_DEP_1) | instskip(NEXT) | instid1(VALU_DEP_1)
	v_add_nc_u32_e32 v7, v7, v1
	v_add_min_i32_e64 v7, v7, 1, v26
	s_delay_alu instid0(VALU_DEP_1) | instskip(NEXT) | instid1(VALU_DEP_1)
	v_dual_mov_b32 v6, 0 :: v_dual_sub_nc_u32 v7, v7, v6
	v_cmpx_lt_i32_e32 0, v7
	s_cbranch_execz .LBB27_296
; %bb.293:
	v_mov_b32_e32 v6, 0
	s_mov_b32 s3, 0
.LBB27_294:                             ; =>This Inner Loop Header: Depth=1
	s_delay_alu instid0(VALU_DEP_1) | instskip(NEXT) | instid1(VALU_DEP_1)
	v_add_nc_u32_e32 v10, v6, v7
	v_lshrrev_b32_e32 v10, 1, v10
	s_delay_alu instid0(VALU_DEP_1) | instskip(SKIP_4) | instid1(VALU_DEP_1)
	v_lshl_add_u32 v11, v10, 2, v4
	ds_load_b32 v11, v11 offset:1024
	s_wait_dscnt 0x0
	v_cmp_lt_i32_e32 vcc_lo, v5, v11
	v_dual_cndmask_b32 v7, v7, v10 :: v_dual_add_nc_u32 v12, 1, v10
	v_cndmask_b32_e32 v6, v12, v6, vcc_lo
	s_delay_alu instid0(VALU_DEP_1) | instskip(SKIP_1) | instid1(SALU_CYCLE_1)
	v_cmp_ge_i32_e32 vcc_lo, v6, v7
	s_or_b32 s3, vcc_lo, s3
	s_and_not1_b32 exec_lo, exec_lo, s3
	s_cbranch_execnz .LBB27_294
; %bb.295:
	s_or_b32 exec_lo, exec_lo, s3
.LBB27_296:
	s_delay_alu instid0(SALU_CYCLE_1) | instskip(NEXT) | instid1(VALU_DEP_2)
	s_or_b32 exec_lo, exec_lo, s0
	v_add_nc_u32_e32 v4, v6, v9
	s_wait_dscnt 0x0
	s_delay_alu instid0(VALU_DEP_1) | instskip(SKIP_1) | instid1(VALU_DEP_2)
	v_min_i32_e32 v5, v4, v1
	v_cmp_lt_i32_e32 vcc_lo, v1, v4
	v_dual_sub_nc_u32 v6, v8, v5 :: v_dual_add_nc_u32 v5, 1, v5
	s_delay_alu instid0(VALU_DEP_1) | instskip(NEXT) | instid1(VALU_DEP_2)
	v_add_nc_u32_e32 v1, v6, v3
	v_cmp_eq_u32_e64 s0, v6, v5
	s_and_b32 s0, vcc_lo, s0
	s_delay_alu instid0(SALU_CYCLE_1)
	v_cndmask_b32_e64 v4, 0, 1, s0
.LBB27_297:
	s_or_b32 exec_lo, exec_lo, s2
	s_delay_alu instid0(VALU_DEP_1) | instskip(SKIP_1) | instid1(SALU_CYCLE_1)
	v_add_nc_u32_e32 v2, v4, v2
	s_lshl_b32 s0, s44, 16
	v_dual_lshlrev_b32 v7, 2, v1 :: v_dual_bitop2_b32 v4, s0, v26 bitop3:0x54
	v_sub_co_u32 v6, s0, v16, 1
	s_delay_alu instid0(VALU_DEP_3) | instskip(NEXT) | instid1(VALU_DEP_1)
	v_sub_nc_u32_e32 v3, v2, v1
	v_lshl_or_b32 v5, v1, 16, v3
	s_delay_alu instid0(VALU_DEP_1) | instskip(NEXT) | instid1(VALU_DEP_4)
	v_cndmask_b32_e64 v4, v5, v4, s0
	v_cndmask_b32_e64 v5, v6, 0xff, s0
	s_delay_alu instid0(VALU_DEP_1)
	v_lshlrev_b32_e32 v6, 2, v5
	v_lshl_add_u32 v5, v3, 2, s1
	ds_store_b32 v6, v4
	s_wait_dscnt 0x0
	s_barrier_signal -1
	s_barrier_wait -1
	ds_load_b32 v0, v0
	ds_load_b32 v23, v7 offset:1024
	ds_load_b32 v24, v5 offset:1024
	s_wait_dscnt 0x2
	v_ashrrev_i32_e32 v4, 16, v0
	v_and_b32_e32 v6, 0xffff, v0
	s_wait_dscnt 0x0
	v_cmp_lt_i32_e32 vcc_lo, v24, v23
	v_mov_b32_e32 v25, v23
	v_cmp_le_i32_e64 s3, v4, v1
	v_cmp_le_i32_e64 s1, v6, v3
	v_cndmask_b32_e64 v0, 0, 1, vcc_lo
	s_delay_alu instid0(VALU_DEP_3)
	v_cndmask_b32_e64 v8, 0, 1, s3
	s_or_b32 s2, s3, s1
	s_delay_alu instid0(VALU_DEP_1) | instid1(SALU_CYCLE_1)
	v_cndmask_b32_e64 v0, v0, v8, s2
	s_delay_alu instid0(VALU_DEP_1) | instskip(NEXT) | instid1(VALU_DEP_1)
	v_and_b32_e32 v0, 1, v0
	v_cmp_eq_u32_e32 vcc_lo, 1, v0
	s_xor_b32 s5, vcc_lo, -1
	s_delay_alu instid0(SALU_CYCLE_1)
	s_and_saveexec_b32 s4, s5
; %bb.298:
	ds_load_b32 v25, v7 offset:1028
	v_add_nc_u32_e32 v1, 1, v1
; %bb.299:
	s_or_b32 exec_lo, exec_lo, s4
	s_xor_b32 s4, s3, -1
	v_cmp_lt_i32_e64 s3, v23, v24
	s_and_b32 s1, s1, s4
	v_mov_b32_e32 v26, v24
	v_cndmask_b32_e64 v7, 0, 1, s1
	v_cndmask_b32_e64 v0, 0, 1, s3
	s_delay_alu instid0(VALU_DEP_1) | instskip(NEXT) | instid1(VALU_DEP_1)
	v_cndmask_b32_e64 v0, v0, v7, s2
	v_and_b32_e32 v0, 1, v0
	s_delay_alu instid0(VALU_DEP_1) | instskip(SKIP_2) | instid1(SALU_CYCLE_1)
	v_cmp_eq_u32_e64 s1, 1, v0
	v_add_nc_u32_e32 v0, s44, v3
	s_xor_b32 s3, s1, -1
	s_and_saveexec_b32 s2, s3
; %bb.300:
	ds_load_b32 v26, v5 offset:1028
	v_add_nc_u32_e32 v0, 1, v0
; %bb.301:
	s_or_b32 exec_lo, exec_lo, s2
	v_cmp_ge_i32_e64 s2, v1, v4
	s_wait_dscnt 0x0
	v_cmp_lt_i32_e64 s4, v26, v25
	v_mov_b32_e32 v27, v25
	s_delay_alu instid0(VALU_DEP_3) | instskip(NEXT) | instid1(VALU_DEP_3)
	v_cndmask_b32_e64 v3, 0, 1, s2
	v_cndmask_b32_e64 v5, 0, 1, s4
	v_add_nc_u32_e32 v7, s44, v6
	s_delay_alu instid0(VALU_DEP_1) | instskip(SKIP_1) | instid1(SALU_CYCLE_1)
	v_cmp_ge_i32_e64 s3, v0, v7
	s_or_b32 s4, s2, s3
	v_cndmask_b32_e64 v3, v5, v3, s4
	s_delay_alu instid0(VALU_DEP_1) | instskip(NEXT) | instid1(VALU_DEP_1)
	v_and_b32_e32 v3, 1, v3
	v_cmp_eq_u32_e64 s17, 1, v3
	v_mov_b32_e32 v3, v1
	s_xor_b32 s5, s17, -1
	s_delay_alu instid0(SALU_CYCLE_1)
	s_and_saveexec_b32 s4, s5
; %bb.302:
	v_lshlrev_b32_e32 v3, 2, v1
	ds_load_b32 v27, v3 offset:1028
	v_add_nc_u32_e32 v3, 1, v1
; %bb.303:
	s_or_b32 exec_lo, exec_lo, s4
	v_cmp_lt_i32_e64 s4, v25, v26
	s_xor_b32 s2, s2, -1
	v_dual_mov_b32 v28, v26 :: v_dual_mov_b32 v5, v0
	s_or_b32 s3, s3, s4
	s_delay_alu instid0(SALU_CYCLE_1) | instskip(NEXT) | instid1(SALU_CYCLE_1)
	s_and_b32 s2, s2, s3
	s_xor_b32 s4, s2, -1
	s_delay_alu instid0(SALU_CYCLE_1)
	s_and_saveexec_b32 s3, s4
; %bb.304:
	v_lshlrev_b32_e32 v5, 2, v0
	ds_load_b32 v28, v5 offset:1028
	v_add_nc_u32_e32 v5, 1, v0
; %bb.305:
	s_or_b32 exec_lo, exec_lo, s3
	v_cmp_ge_i32_e64 s4, v3, v4
	s_wait_dscnt 0x0
	v_cmp_lt_i32_e64 s5, v28, v27
	v_cmp_ge_i32_e64 s3, v5, v7
	v_mov_b32_e32 v29, v27
	v_cndmask_b32_e64 v6, 0, 1, s4
	s_delay_alu instid0(VALU_DEP_4)
	v_cndmask_b32_e64 v8, 0, 1, s5
	s_or_b32 s5, s4, s3
	s_delay_alu instid0(VALU_DEP_1) | instid1(SALU_CYCLE_1)
	v_cndmask_b32_e64 v6, v8, v6, s5
	s_delay_alu instid0(VALU_DEP_1) | instskip(NEXT) | instid1(VALU_DEP_1)
	v_and_b32_e32 v6, 1, v6
	v_cmp_eq_u32_e64 s18, 1, v6
	v_mov_b32_e32 v6, v3
	s_xor_b32 s6, s18, -1
	s_delay_alu instid0(SALU_CYCLE_1)
	s_and_saveexec_b32 s5, s6
; %bb.306:
	v_lshlrev_b32_e32 v6, 2, v3
	ds_load_b32 v29, v6 offset:1028
	v_add_nc_u32_e32 v6, 1, v3
; %bb.307:
	s_or_b32 exec_lo, exec_lo, s5
	v_cmp_lt_i32_e64 s5, v27, v28
	s_xor_b32 s4, s4, -1
	v_dual_mov_b32 v30, v28 :: v_dual_mov_b32 v8, v5
	s_or_b32 s3, s3, s5
	s_delay_alu instid0(SALU_CYCLE_1) | instskip(NEXT) | instid1(SALU_CYCLE_1)
	s_and_b32 s3, s4, s3
	s_xor_b32 s5, s3, -1
	s_delay_alu instid0(SALU_CYCLE_1)
	s_and_saveexec_b32 s4, s5
; %bb.308:
	v_lshlrev_b32_e32 v8, 2, v5
	ds_load_b32 v30, v8 offset:1028
	v_add_nc_u32_e32 v8, 1, v5
; %bb.309:
	s_or_b32 exec_lo, exec_lo, s4
	v_cmp_ge_i32_e64 s5, v6, v4
	s_wait_dscnt 0x0
	v_cmp_lt_i32_e64 s6, v30, v29
	v_cmp_ge_i32_e64 s4, v8, v7
	v_mov_b32_e32 v31, v29
	v_cndmask_b32_e64 v9, 0, 1, s5
	s_delay_alu instid0(VALU_DEP_4)
	v_cndmask_b32_e64 v10, 0, 1, s6
	s_or_b32 s6, s5, s4
	s_delay_alu instid0(VALU_DEP_1) | instid1(SALU_CYCLE_1)
	;; [unrolled: 39-line block ×6, first 2 shown]
	v_cndmask_b32_e64 v19, v20, v19, s10
	s_delay_alu instid0(VALU_DEP_1) | instskip(NEXT) | instid1(VALU_DEP_1)
	v_and_b32_e32 v19, 1, v19
	v_cmp_eq_u32_e64 s23, 1, v19
	v_mov_b32_e32 v19, v15
	s_xor_b32 s11, s23, -1
	s_delay_alu instid0(SALU_CYCLE_1)
	s_and_saveexec_b32 s10, s11
; %bb.326:
	v_lshlrev_b32_e32 v19, 2, v15
	ds_load_b32 v39, v19 offset:1028
	v_add_nc_u32_e32 v19, 1, v15
; %bb.327:
	s_or_b32 exec_lo, exec_lo, s10
	v_cmp_lt_i32_e64 s10, v37, v38
	s_xor_b32 s9, s9, -1
	v_dual_mov_b32 v40, v38 :: v_dual_mov_b32 v20, v18
	s_or_b32 s8, s8, s10
	s_delay_alu instid0(SALU_CYCLE_1) | instskip(NEXT) | instid1(SALU_CYCLE_1)
	s_and_b32 s8, s9, s8
	s_xor_b32 s10, s8, -1
	s_delay_alu instid0(SALU_CYCLE_1)
	s_and_saveexec_b32 s9, s10
; %bb.328:
	v_lshlrev_b32_e32 v20, 2, v18
	ds_load_b32 v40, v20 offset:1028
	v_add_nc_u32_e32 v20, 1, v18
; %bb.329:
	s_or_b32 exec_lo, exec_lo, s9
	v_cmp_ge_i32_e64 s10, v19, v4
	s_wait_dscnt 0x0
	v_cmp_lt_i32_e64 s11, v40, v39
	v_cmp_ge_i32_e64 s9, v20, v7
	s_delay_alu instid0(VALU_DEP_3) | instskip(NEXT) | instid1(VALU_DEP_3)
	v_cndmask_b32_e64 v21, 0, 1, s10
	v_cndmask_b32_e64 v41, 0, 1, s11
	s_or_b32 s11, s10, s9
	s_delay_alu instid0(VALU_DEP_1) | instid1(SALU_CYCLE_1)
	v_dual_cndmask_b32 v21, v41, v21, s11 :: v_dual_mov_b32 v41, v39
	s_delay_alu instid0(VALU_DEP_1) | instskip(NEXT) | instid1(VALU_DEP_1)
	v_and_b32_e32 v21, 1, v21
	v_cmp_eq_u32_e64 s24, 1, v21
	v_mov_b32_e32 v21, v19
	s_xor_b32 s12, s24, -1
	s_delay_alu instid0(SALU_CYCLE_1)
	s_and_saveexec_b32 s11, s12
; %bb.330:
	v_lshlrev_b32_e32 v21, 2, v19
	ds_load_b32 v41, v21 offset:1028
	v_add_nc_u32_e32 v21, 1, v19
; %bb.331:
	s_or_b32 exec_lo, exec_lo, s11
	v_cmp_lt_i32_e64 s11, v39, v40
	s_xor_b32 s10, s10, -1
	v_dual_mov_b32 v42, v40 :: v_dual_mov_b32 v55, v20
	s_or_b32 s9, s9, s11
	s_delay_alu instid0(SALU_CYCLE_1) | instskip(NEXT) | instid1(SALU_CYCLE_1)
	s_and_b32 s9, s10, s9
	s_xor_b32 s11, s9, -1
	s_delay_alu instid0(SALU_CYCLE_1)
	s_and_saveexec_b32 s10, s11
; %bb.332:
	v_dual_lshlrev_b32 v42, 2, v20 :: v_dual_add_nc_u32 v55, 1, v20
	ds_load_b32 v42, v42 offset:1028
; %bb.333:
	s_or_b32 exec_lo, exec_lo, s10
	v_cmp_ge_i32_e64 s11, v21, v4
	s_wait_dscnt 0x0
	v_cmp_lt_i32_e64 s12, v42, v41
	v_cmp_ge_i32_e64 s10, v55, v7
	v_mov_b32_e32 v56, v21
	v_cndmask_b32_e64 v43, 0, 1, s11
	s_delay_alu instid0(VALU_DEP_4)
	v_cndmask_b32_e64 v44, 0, 1, s12
	s_or_b32 s12, s11, s10
	s_delay_alu instid0(VALU_DEP_1) | instid1(SALU_CYCLE_1)
	v_cndmask_b32_e64 v43, v44, v43, s12
	s_delay_alu instid0(VALU_DEP_1) | instskip(NEXT) | instid1(VALU_DEP_1)
	v_and_b32_e32 v43, 1, v43
	v_cmp_eq_u32_e64 s25, 1, v43
	v_mov_b32_e32 v43, v41
	s_xor_b32 s13, s25, -1
	s_delay_alu instid0(SALU_CYCLE_1)
	s_and_saveexec_b32 s12, s13
; %bb.334:
	v_dual_lshlrev_b32 v43, 2, v21 :: v_dual_add_nc_u32 v56, 1, v21
	ds_load_b32 v43, v43 offset:1028
; %bb.335:
	s_or_b32 exec_lo, exec_lo, s12
	v_cmp_lt_i32_e64 s12, v41, v42
	s_xor_b32 s11, s11, -1
	v_dual_mov_b32 v44, v42 :: v_dual_mov_b32 v57, v55
	s_or_b32 s10, s10, s12
	s_delay_alu instid0(SALU_CYCLE_1) | instskip(NEXT) | instid1(SALU_CYCLE_1)
	s_and_b32 s10, s11, s10
	s_xor_b32 s12, s10, -1
	s_delay_alu instid0(SALU_CYCLE_1)
	s_and_saveexec_b32 s11, s12
; %bb.336:
	v_dual_lshlrev_b32 v44, 2, v55 :: v_dual_add_nc_u32 v57, 1, v55
	ds_load_b32 v44, v44 offset:1028
; %bb.337:
	s_or_b32 exec_lo, exec_lo, s11
	v_cmp_ge_i32_e64 s12, v56, v4
	s_wait_dscnt 0x0
	v_cmp_lt_i32_e64 s13, v44, v43
	v_cmp_ge_i32_e64 s11, v57, v7
	v_mov_b32_e32 v58, v56
	v_cndmask_b32_e64 v45, 0, 1, s12
	s_delay_alu instid0(VALU_DEP_4)
	v_cndmask_b32_e64 v46, 0, 1, s13
	s_or_b32 s13, s12, s11
	s_delay_alu instid0(VALU_DEP_1) | instid1(SALU_CYCLE_1)
	v_cndmask_b32_e64 v45, v46, v45, s13
	s_delay_alu instid0(VALU_DEP_1) | instskip(NEXT) | instid1(VALU_DEP_1)
	v_and_b32_e32 v45, 1, v45
	v_cmp_eq_u32_e64 s26, 1, v45
	v_mov_b32_e32 v45, v43
	s_xor_b32 s14, s26, -1
	s_delay_alu instid0(SALU_CYCLE_1)
	s_and_saveexec_b32 s13, s14
; %bb.338:
	v_dual_lshlrev_b32 v45, 2, v56 :: v_dual_add_nc_u32 v58, 1, v56
	ds_load_b32 v45, v45 offset:1028
	;; [unrolled: 37-line block ×6, first 2 shown]
; %bb.355:
	s_or_b32 exec_lo, exec_lo, s31
	v_cmp_lt_i32_e64 s31, v51, v52
	s_xor_b32 s15, s15, -1
	v_dual_mov_b32 v54, v52 :: v_dual_mov_b32 v67, v65
	s_or_b32 s16, s16, s31
	s_delay_alu instid0(SALU_CYCLE_1) | instskip(NEXT) | instid1(SALU_CYCLE_1)
	s_and_b32 s15, s15, s16
	s_xor_b32 s31, s15, -1
	s_delay_alu instid0(SALU_CYCLE_1)
	s_and_saveexec_b32 s16, s31
; %bb.356:
	v_dual_lshlrev_b32 v54, 2, v65 :: v_dual_add_nc_u32 v67, 1, v65
	ds_load_b32 v54, v54 offset:1028
; %bb.357:
	s_or_b32 exec_lo, exec_lo, s16
	v_cmp_ge_i32_e64 s31, v66, v4
	s_wait_dscnt 0x0
	v_cmp_lt_i32_e64 s33, v54, v53
	v_cmp_ge_i32_e64 s16, v67, v7
	v_add_nc_u32_e32 v60, v61, v60
	v_add_nc_u32_e32 v56, v57, v56
	v_cndmask_b32_e64 v68, 0, 1, s31
	v_cndmask_b32_e64 v69, 0, 1, s33
	s_or_b32 s31, s31, s16
	v_cmp_lt_i32_e64 s33, v53, v54
	s_xor_b32 s48, s28, s13
	v_dual_add_nc_u32 v19, v20, v19 :: v_dual_cndmask_b32 v68, v69, v68, s31
	v_cmp_lt_i32_e64 s31, v66, v4
	v_add_nc_u32_e32 v4, v7, v4
	v_dual_add_nc_u32 v7, v65, v64 :: v_dual_add_nc_u32 v13, v14, v13
	s_or_b32 s16, s16, s33
	v_add_nc_u32_e32 v66, v67, v66
	s_and_b32 s16, s31, s16
	s_delay_alu instid0(VALU_DEP_2) | instskip(SKIP_3) | instid1(VALU_DEP_3)
	v_cmp_lt_i32_e64 s31, v7, v4
	v_dual_add_nc_u32 v7, v59, v58 :: v_dual_bitop2_b32 v67, 1, v68 bitop3:0x40
	v_dual_add_nc_u32 v62, v63, v62 :: v_dual_add_nc_u32 v3, v5, v3
	v_add_nc_u32_e32 v0, v0, v1
	v_cmp_lt_i32_e64 s28, v7, v4
	v_add_nc_u32_e32 v7, v55, v21
	v_cmp_eq_u32_e64 s34, 1, v67
	s_xor_b32 s50, s26, s11
	v_cmp_lt_i32_e64 s36, v3, v4
	v_add_nc_u32_e32 v1, s44, v2
	v_cmp_lt_i32_e64 s26, v7, v4
	v_dual_add_nc_u32 v7, v18, v15 :: v_dual_add_nc_u32 v6, v8, v6
	s_xor_b32 s55, s19, s4
	s_xor_b32 s19, s18, s3
	;; [unrolled: 1-line block ×3, first 2 shown]
	v_add_nc_u32_e32 v11, v12, v11
	v_cmp_lt_i32_e64 s34, v7, v4
	v_add_nc_u32_e32 v7, v10, v9
	v_cmp_lt_i32_e64 s18, v0, v4
	s_and_b32 s36, s36, s19
	v_cmp_lt_i32_e64 s19, v1, v4
	s_xor_b32 s17, s17, s2
	s_xor_b32 s39, vcc_lo, s1
	s_xor_b32 s53, s21, s6
	v_cmp_lt_i32_e64 s21, v7, v4
	s_xor_b32 s54, s20, s5
	v_cmp_lt_i32_e64 s20, v6, v4
	s_and_b32 s38, s18, s17
	s_and_b32 s39, s19, s39
	v_cndmask_b32_e64 v0, 0, 4, s36
	v_cndmask_b32_e64 v1, 0, 2, s38
	;; [unrolled: 1-line block ×3, first 2 shown]
	v_cmp_lt_i32_e64 s35, v13, v4
	s_xor_b32 s52, s22, s7
	v_cmp_lt_i32_e64 s22, v11, v4
	s_and_b32 s21, s21, s54
	s_and_b32 s20, s20, s55
	v_cmp_lt_i32_e64 s33, v66, v4
	s_xor_b32 s46, s30, s15
	v_cmp_lt_i32_e64 s30, v62, v4
	s_xor_b32 s47, s29, s14
	;; [unrolled: 2-line block ×4, first 2 shown]
	v_cmp_lt_i32_e64 s25, v19, v4
	v_cndmask_b32_e64 v3, 0, 16, s21
	v_cndmask_b32_e64 v4, 0, 8, s20
	v_or3_b32 v0, v1, v2, v0
	s_and_b32 s17, s35, s52
	s_and_b32 s19, s22, s53
	v_cndmask_b32_e64 v1, 0, 64, s17
	v_cndmask_b32_e64 v2, 0, 32, s19
	v_or3_b32 v0, v0, v4, v3
	s_xor_b32 s17, s23, s8
	s_xor_b32 s18, s24, s9
	s_and_b32 s17, s34, s17
	v_mov_b32_e32 v9, 0
	v_cndmask_b32_e64 v3, 0, 0x80, s17
	v_or3_b32 v60, v0, v2, v1
	s_and_b32 s17, s26, s51
	v_mbcnt_lo_u32_b32 v61, -1, 0
	v_cndmask_b32_e64 v0, 0, 0x200, s17
	s_and_b32 s17, s25, s18
	v_or_b32_e32 v59, v3, v60
	v_cndmask_b32_e64 v1, 0, 0x100, s17
	s_and_b32 s17, s28, s49
	s_delay_alu instid0(SALU_CYCLE_1) | instskip(SKIP_1) | instid1(VALU_DEP_2)
	v_cndmask_b32_e64 v2, 0, 0x800, s17
	s_and_b32 s17, s27, s50
	v_or3_b32 v58, v1, v0, v59
	v_cndmask_b32_e64 v3, 0, 0x400, s17
	s_and_b32 s17, s30, s47
	s_barrier_signal -1
	v_cndmask_b32_e64 v0, 0, 0x2000, s17
	s_and_b32 s17, s29, s48
	v_or3_b32 v57, v3, v2, v58
	v_cndmask_b32_e64 v1, 0, 0x1000, s17
	s_and_b32 s17, s33, s45
	s_barrier_wait -1
	v_cndmask_b32_e64 v2, 0, 0x8000, s17
	s_and_b32 s17, s31, s46
	v_or3_b32 v56, v1, v0, v57
	v_cndmask_b32_e64 v3, 0, 0x4000, s17
	s_cmp_lg_u32 s37, 0
	s_delay_alu instid0(VALU_DEP_1) | instskip(NEXT) | instid1(VALU_DEP_1)
	v_or3_b32 v55, v3, v2, v56
	v_bcnt_u32_b32 v8, v55, 0
	s_cbranch_scc0 .LBB27_414
; %bb.358:
	s_delay_alu instid0(VALU_DEP_1)
	v_mov_b64_e32 v[2:3], v[8:9]
	v_dual_mov_b32 v0, v8 :: v_dual_bitop2_b32 v10, 15, v61 bitop3:0x40
	v_mov_b32_dpp v4, v8 row_shr:1 row_mask:0xf bank_mask:0xf
	v_mov_b32_dpp v7, v9 row_shr:1 row_mask:0xf bank_mask:0xf
	v_mov_b32_e32 v5, v9
	s_mov_b32 s17, exec_lo
	v_cmpx_ne_u32_e32 0, v10
; %bb.359:
	v_mov_b32_e32 v6, 0
	s_delay_alu instid0(VALU_DEP_1) | instskip(NEXT) | instid1(VALU_DEP_1)
	v_mov_b32_e32 v5, v6
	v_add_nc_u64_e32 v[0:1], v[4:5], v[8:9]
	s_delay_alu instid0(VALU_DEP_1) | instskip(NEXT) | instid1(VALU_DEP_1)
	v_add_nc_u64_e32 v[4:5], v[6:7], v[0:1]
	v_mov_b64_e32 v[2:3], v[4:5]
; %bb.360:
	s_or_b32 exec_lo, exec_lo, s17
	v_mov_b32_dpp v4, v0 row_shr:2 row_mask:0xf bank_mask:0xf
	v_mov_b32_dpp v7, v5 row_shr:2 row_mask:0xf bank_mask:0xf
	s_mov_b32 s17, exec_lo
	v_cmpx_lt_u32_e32 1, v10
; %bb.361:
	v_mov_b32_e32 v6, 0
	s_delay_alu instid0(VALU_DEP_1) | instskip(NEXT) | instid1(VALU_DEP_1)
	v_mov_b32_e32 v5, v6
	v_add_nc_u64_e32 v[0:1], v[2:3], v[4:5]
	s_delay_alu instid0(VALU_DEP_1) | instskip(NEXT) | instid1(VALU_DEP_1)
	v_add_nc_u64_e32 v[4:5], v[6:7], v[0:1]
	v_mov_b64_e32 v[2:3], v[4:5]
; %bb.362:
	s_or_b32 exec_lo, exec_lo, s17
	v_mov_b32_dpp v4, v0 row_shr:4 row_mask:0xf bank_mask:0xf
	v_mov_b32_dpp v7, v5 row_shr:4 row_mask:0xf bank_mask:0xf
	s_mov_b32 s17, exec_lo
	v_cmpx_lt_u32_e32 3, v10
	;; [unrolled: 14-line block ×3, first 2 shown]
; %bb.365:
	v_mov_b32_e32 v6, 0
	s_delay_alu instid0(VALU_DEP_1) | instskip(NEXT) | instid1(VALU_DEP_1)
	v_mov_b32_e32 v5, v6
	v_add_nc_u64_e32 v[0:1], v[2:3], v[4:5]
	s_delay_alu instid0(VALU_DEP_1) | instskip(NEXT) | instid1(VALU_DEP_1)
	v_add_nc_u64_e32 v[2:3], v[6:7], v[0:1]
	v_mov_b32_e32 v5, v3
; %bb.366:
	s_or_b32 exec_lo, exec_lo, s17
	ds_swizzle_b32 v4, v0 offset:swizzle(BROADCAST,32,15)
	ds_swizzle_b32 v7, v5 offset:swizzle(BROADCAST,32,15)
	v_and_b32_e32 v1, 16, v61
	s_mov_b32 s17, exec_lo
	s_delay_alu instid0(VALU_DEP_1)
	v_cmpx_ne_u32_e32 0, v1
	s_cbranch_execz .LBB27_368
; %bb.367:
	v_mov_b32_e32 v6, 0
	s_delay_alu instid0(VALU_DEP_1) | instskip(SKIP_1) | instid1(VALU_DEP_1)
	v_mov_b32_e32 v5, v6
	s_wait_dscnt 0x1
	v_add_nc_u64_e32 v[0:1], v[2:3], v[4:5]
	s_wait_dscnt 0x0
	s_delay_alu instid0(VALU_DEP_1)
	v_add_nc_u64_e32 v[2:3], v[6:7], v[0:1]
.LBB27_368:
	s_or_b32 exec_lo, exec_lo, s17
	v_and_b32_e32 v1, 0x3e0, v16
	s_mov_b32 s17, exec_lo
	s_delay_alu instid0(VALU_DEP_1) | instskip(SKIP_1) | instid1(VALU_DEP_1)
	v_min_u32_e32 v1, 0xe0, v1
	s_wait_dscnt 0x1
	v_dual_lshrrev_b32 v1, 5, v16 :: v_dual_bitop2_b32 v4, 31, v1 bitop3:0x54
	s_delay_alu instid0(VALU_DEP_1)
	v_cmpx_eq_u32_e64 v16, v4
; %bb.369:
	s_delay_alu instid0(VALU_DEP_2)
	v_lshlrev_b32_e32 v4, 3, v1
	ds_store_b64 v4, v[2:3]
; %bb.370:
	s_or_b32 exec_lo, exec_lo, s17
	s_delay_alu instid0(SALU_CYCLE_1)
	s_mov_b32 s17, exec_lo
	s_wait_dscnt 0x0
	s_barrier_signal -1
	s_barrier_wait -1
	v_cmpx_gt_u32_e32 8, v16
	s_cbranch_execz .LBB27_378
; %bb.371:
	v_dual_lshlrev_b32 v12, 3, v16 :: v_dual_bitop2_b32 v13, 7, v61 bitop3:0x40
	s_mov_b32 s18, exec_lo
	ds_load_b64 v[2:3], v12
	s_wait_dscnt 0x0
	v_mov_b32_dpp v6, v2 row_shr:1 row_mask:0xf bank_mask:0xf
	v_mov_b32_dpp v11, v3 row_shr:1 row_mask:0xf bank_mask:0xf
	v_mov_b32_e32 v4, v2
	v_cmpx_ne_u32_e32 0, v13
; %bb.372:
	v_mov_b32_e32 v10, 0
	s_delay_alu instid0(VALU_DEP_1) | instskip(NEXT) | instid1(VALU_DEP_1)
	v_mov_b32_e32 v7, v10
	v_add_nc_u64_e32 v[4:5], v[2:3], v[6:7]
	s_delay_alu instid0(VALU_DEP_1)
	v_add_nc_u64_e32 v[2:3], v[10:11], v[4:5]
; %bb.373:
	s_or_b32 exec_lo, exec_lo, s18
	v_mov_b32_dpp v6, v4 row_shr:2 row_mask:0xf bank_mask:0xf
	s_delay_alu instid0(VALU_DEP_2)
	v_mov_b32_dpp v11, v3 row_shr:2 row_mask:0xf bank_mask:0xf
	s_mov_b32 s18, exec_lo
	v_cmpx_lt_u32_e32 1, v13
; %bb.374:
	v_mov_b32_e32 v10, 0
	s_delay_alu instid0(VALU_DEP_1) | instskip(NEXT) | instid1(VALU_DEP_1)
	v_mov_b32_e32 v7, v10
	v_add_nc_u64_e32 v[4:5], v[2:3], v[6:7]
	s_delay_alu instid0(VALU_DEP_1)
	v_add_nc_u64_e32 v[2:3], v[10:11], v[4:5]
; %bb.375:
	s_or_b32 exec_lo, exec_lo, s18
	v_mov_b32_dpp v4, v4 row_shr:4 row_mask:0xf bank_mask:0xf
	s_delay_alu instid0(VALU_DEP_2)
	v_mov_b32_dpp v7, v3 row_shr:4 row_mask:0xf bank_mask:0xf
	s_mov_b32 s18, exec_lo
	v_cmpx_lt_u32_e32 3, v13
; %bb.376:
	v_mov_b32_e32 v6, 0
	s_delay_alu instid0(VALU_DEP_1) | instskip(NEXT) | instid1(VALU_DEP_1)
	v_mov_b32_e32 v5, v6
	v_add_nc_u64_e32 v[2:3], v[2:3], v[4:5]
	s_delay_alu instid0(VALU_DEP_1)
	v_add_nc_u64_e32 v[2:3], v[2:3], v[6:7]
; %bb.377:
	s_or_b32 exec_lo, exec_lo, s18
	ds_store_b64 v12, v[2:3]
.LBB27_378:
	s_or_b32 exec_lo, exec_lo, s17
	s_delay_alu instid0(SALU_CYCLE_1)
	s_mov_b32 s18, exec_lo
	v_cmp_gt_u32_e32 vcc_lo, 32, v16
	s_wait_dscnt 0x0
	s_barrier_signal -1
	s_barrier_wait -1
                                        ; implicit-def: $vgpr10_vgpr11
	v_cmpx_lt_u32_e32 31, v16
	s_cbranch_execz .LBB27_380
; %bb.379:
	v_lshl_add_u32 v1, v1, 3, -8
	ds_load_b64 v[10:11], v1
	s_wait_dscnt 0x0
	v_add_nc_u32_e32 v0, v0, v10
.LBB27_380:
	s_or_b32 exec_lo, exec_lo, s18
	v_sub_co_u32 v1, s17, v61, 1
	s_delay_alu instid0(VALU_DEP_1) | instskip(NEXT) | instid1(VALU_DEP_1)
	v_cmp_gt_i32_e64 s18, 0, v1
	v_cndmask_b32_e64 v1, v1, v61, s18
	s_delay_alu instid0(VALU_DEP_1)
	v_lshlrev_b32_e32 v1, 2, v1
	ds_bpermute_b32 v62, v1, v0
	s_and_saveexec_b32 s18, vcc_lo
	s_cbranch_execz .LBB27_419
; %bb.381:
	v_mov_b32_e32 v3, 0
	ds_load_b64 v[0:1], v3 offset:56
	s_and_saveexec_b32 s22, s17
	s_cbranch_execz .LBB27_383
; %bb.382:
	s_add_co_i32 s24, s37, 32
	s_mov_b32 s25, 0
	v_mov_b32_e32 v2, 1
	s_lshl_b64 s[24:25], s[24:25], 4
	s_delay_alu instid0(SALU_CYCLE_1) | instskip(NEXT) | instid1(SALU_CYCLE_1)
	s_add_nc_u64 s[24:25], s[40:41], s[24:25]
	v_mov_b64_e32 v[4:5], s[24:25]
	s_wait_dscnt 0x0
	;;#ASMSTART
	global_store_b128 v[4:5], v[0:3] off scope:SCOPE_DEV	
s_wait_storecnt 0x0
	;;#ASMEND
.LBB27_383:
	s_or_b32 exec_lo, exec_lo, s22
	v_xad_u32 v12, v61, -1, s37
	s_mov_b32 s23, 0
	s_mov_b32 s22, exec_lo
	s_delay_alu instid0(VALU_DEP_1) | instskip(NEXT) | instid1(VALU_DEP_1)
	v_add_nc_u32_e32 v2, 32, v12
	v_lshl_add_u64 v[2:3], v[2:3], 4, s[40:41]
	;;#ASMSTART
	global_load_b128 v[4:7], v[2:3] off scope:SCOPE_DEV	
s_wait_loadcnt 0x0
	;;#ASMEND
	v_and_b32_e32 v7, 0xff, v6
	s_delay_alu instid0(VALU_DEP_1)
	v_cmpx_eq_u16_e32 0, v7
	s_cbranch_execz .LBB27_386
.LBB27_384:                             ; =>This Inner Loop Header: Depth=1
	;;#ASMSTART
	global_load_b128 v[4:7], v[2:3] off scope:SCOPE_DEV	
s_wait_loadcnt 0x0
	;;#ASMEND
	v_and_b32_e32 v7, 0xff, v6
	s_delay_alu instid0(VALU_DEP_1) | instskip(SKIP_1) | instid1(SALU_CYCLE_1)
	v_cmp_ne_u16_e32 vcc_lo, 0, v7
	s_or_b32 s23, vcc_lo, s23
	s_and_not1_b32 exec_lo, exec_lo, s23
	s_cbranch_execnz .LBB27_384
; %bb.385:
	s_or_b32 exec_lo, exec_lo, s23
.LBB27_386:
	s_delay_alu instid0(SALU_CYCLE_1)
	s_or_b32 exec_lo, exec_lo, s22
	v_cmp_ne_u32_e32 vcc_lo, 31, v61
	v_and_b32_e32 v3, 0xff, v6
	v_lshlrev_b32_e64 v64, v61, -1
	s_mov_b32 s22, exec_lo
	v_add_co_ci_u32_e64 v2, null, 0, v61, vcc_lo
	s_delay_alu instid0(VALU_DEP_3) | instskip(NEXT) | instid1(VALU_DEP_2)
	v_cmp_eq_u16_e32 vcc_lo, 2, v3
	v_lshlrev_b32_e32 v63, 2, v2
	v_and_or_b32 v2, vcc_lo, v64, 0x80000000
	s_delay_alu instid0(VALU_DEP_1)
	v_ctz_i32_b32_e32 v7, v2
	v_mov_b32_e32 v2, v4
	ds_bpermute_b32 v14, v63, v4
	ds_bpermute_b32 v19, v63, v5
	v_cmpx_lt_u32_e64 v61, v7
	s_cbranch_execz .LBB27_388
; %bb.387:
	v_mov_b32_e32 v18, 0
	s_delay_alu instid0(VALU_DEP_1) | instskip(SKIP_1) | instid1(VALU_DEP_1)
	v_mov_b32_e32 v15, v18
	s_wait_dscnt 0x1
	v_add_nc_u64_e32 v[2:3], v[4:5], v[14:15]
	s_wait_dscnt 0x0
	s_delay_alu instid0(VALU_DEP_1)
	v_add_nc_u64_e32 v[4:5], v[18:19], v[2:3]
.LBB27_388:
	s_or_b32 exec_lo, exec_lo, s22
	v_cmp_gt_u32_e32 vcc_lo, 30, v61
	v_add_nc_u32_e32 v66, 2, v61
	s_mov_b32 s22, exec_lo
	v_cndmask_b32_e64 v3, 0, 2, vcc_lo
	s_delay_alu instid0(VALU_DEP_1)
	v_add_lshl_u32 v65, v3, v61, 2
	s_wait_dscnt 0x1
	ds_bpermute_b32 v14, v65, v2
	s_wait_dscnt 0x1
	ds_bpermute_b32 v19, v65, v5
	v_cmpx_le_u32_e64 v66, v7
	s_cbranch_execz .LBB27_390
; %bb.389:
	v_mov_b32_e32 v18, 0
	s_delay_alu instid0(VALU_DEP_1) | instskip(SKIP_1) | instid1(VALU_DEP_1)
	v_mov_b32_e32 v15, v18
	s_wait_dscnt 0x1
	v_add_nc_u64_e32 v[2:3], v[4:5], v[14:15]
	s_wait_dscnt 0x0
	s_delay_alu instid0(VALU_DEP_1)
	v_add_nc_u64_e32 v[4:5], v[18:19], v[2:3]
.LBB27_390:
	s_or_b32 exec_lo, exec_lo, s22
	v_cmp_gt_u32_e32 vcc_lo, 28, v61
	v_add_nc_u32_e32 v68, 4, v61
	s_mov_b32 s22, exec_lo
	v_cndmask_b32_e64 v3, 0, 4, vcc_lo
	s_delay_alu instid0(VALU_DEP_1)
	v_add_lshl_u32 v67, v3, v61, 2
	s_wait_dscnt 0x1
	ds_bpermute_b32 v14, v67, v2
	s_wait_dscnt 0x1
	ds_bpermute_b32 v19, v67, v5
	v_cmpx_le_u32_e64 v68, v7
	;; [unrolled: 23-line block ×3, first 2 shown]
	s_cbranch_execz .LBB27_394
; %bb.393:
	v_mov_b32_e32 v18, 0
	s_delay_alu instid0(VALU_DEP_1) | instskip(SKIP_1) | instid1(VALU_DEP_1)
	v_mov_b32_e32 v15, v18
	s_wait_dscnt 0x1
	v_add_nc_u64_e32 v[2:3], v[4:5], v[14:15]
	s_wait_dscnt 0x0
	s_delay_alu instid0(VALU_DEP_1)
	v_add_nc_u64_e32 v[4:5], v[18:19], v[2:3]
.LBB27_394:
	s_or_b32 exec_lo, exec_lo, s22
	v_lshl_or_b32 v71, v61, 2, 64
	v_add_nc_u32_e32 v72, 16, v61
	s_mov_b32 s22, exec_lo
	ds_bpermute_b32 v2, v71, v2
	ds_bpermute_b32 v15, v71, v5
	v_cmpx_le_u32_e64 v72, v7
	s_cbranch_execz .LBB27_396
; %bb.395:
	s_wait_dscnt 0x3
	v_mov_b32_e32 v14, 0
	s_delay_alu instid0(VALU_DEP_1) | instskip(SKIP_1) | instid1(VALU_DEP_1)
	v_mov_b32_e32 v3, v14
	s_wait_dscnt 0x1
	v_add_nc_u64_e32 v[2:3], v[4:5], v[2:3]
	s_wait_dscnt 0x0
	s_delay_alu instid0(VALU_DEP_1)
	v_add_nc_u64_e32 v[4:5], v[2:3], v[14:15]
.LBB27_396:
	s_or_b32 exec_lo, exec_lo, s22
	v_mov_b32_e32 v13, 0
	s_branch .LBB27_399
.LBB27_397:                             ;   in Loop: Header=BB27_399 Depth=1
	s_or_b32 exec_lo, exec_lo, s22
	s_delay_alu instid0(VALU_DEP_1)
	v_add_nc_u64_e32 v[4:5], v[4:5], v[2:3]
	v_subrev_nc_u32_e32 v12, 32, v12
	s_mov_b32 s22, 0
.LBB27_398:                             ;   in Loop: Header=BB27_399 Depth=1
	s_delay_alu instid0(SALU_CYCLE_1)
	s_and_b32 vcc_lo, exec_lo, s22
	s_cbranch_vccnz .LBB27_415
.LBB27_399:                             ; =>This Loop Header: Depth=1
                                        ;     Child Loop BB27_402 Depth 2
	s_wait_dscnt 0x1
	v_and_b32_e32 v2, 0xff, v6
	s_mov_b32 s22, -1
	s_delay_alu instid0(VALU_DEP_1)
	v_cmp_ne_u16_e32 vcc_lo, 2, v2
	v_mov_b64_e32 v[2:3], v[4:5]
                                        ; implicit-def: $vgpr4_vgpr5
	s_cmp_lg_u32 vcc_lo, exec_lo
	s_cbranch_scc1 .LBB27_398
; %bb.400:                              ;   in Loop: Header=BB27_399 Depth=1
	s_wait_dscnt 0x0
	v_lshl_add_u64 v[14:15], v[12:13], 4, s[40:41]
	;;#ASMSTART
	global_load_b128 v[4:7], v[14:15] off scope:SCOPE_DEV	
s_wait_loadcnt 0x0
	;;#ASMEND
	v_and_b32_e32 v7, 0xff, v6
	s_mov_b32 s22, exec_lo
	s_delay_alu instid0(VALU_DEP_1)
	v_cmpx_eq_u16_e32 0, v7
	s_cbranch_execz .LBB27_404
; %bb.401:                              ;   in Loop: Header=BB27_399 Depth=1
	s_mov_b32 s23, 0
.LBB27_402:                             ;   Parent Loop BB27_399 Depth=1
                                        ; =>  This Inner Loop Header: Depth=2
	;;#ASMSTART
	global_load_b128 v[4:7], v[14:15] off scope:SCOPE_DEV	
s_wait_loadcnt 0x0
	;;#ASMEND
	v_and_b32_e32 v7, 0xff, v6
	s_delay_alu instid0(VALU_DEP_1) | instskip(SKIP_1) | instid1(SALU_CYCLE_1)
	v_cmp_ne_u16_e32 vcc_lo, 0, v7
	s_or_b32 s23, vcc_lo, s23
	s_and_not1_b32 exec_lo, exec_lo, s23
	s_cbranch_execnz .LBB27_402
; %bb.403:                              ;   in Loop: Header=BB27_399 Depth=1
	s_or_b32 exec_lo, exec_lo, s23
.LBB27_404:                             ;   in Loop: Header=BB27_399 Depth=1
	s_delay_alu instid0(SALU_CYCLE_1)
	s_or_b32 exec_lo, exec_lo, s22
	v_and_b32_e32 v7, 0xff, v6
	ds_bpermute_b32 v18, v63, v4
	ds_bpermute_b32 v21, v63, v5
	v_mov_b32_e32 v14, v4
	s_mov_b32 s22, exec_lo
	v_cmp_eq_u16_e32 vcc_lo, 2, v7
	v_and_or_b32 v7, vcc_lo, v64, 0x80000000
	s_delay_alu instid0(VALU_DEP_1) | instskip(NEXT) | instid1(VALU_DEP_1)
	v_ctz_i32_b32_e32 v7, v7
	v_cmpx_lt_u32_e64 v61, v7
	s_cbranch_execz .LBB27_406
; %bb.405:                              ;   in Loop: Header=BB27_399 Depth=1
	v_dual_mov_b32 v19, v13 :: v_dual_mov_b32 v20, v13
	s_wait_dscnt 0x1
	s_delay_alu instid0(VALU_DEP_1) | instskip(SKIP_1) | instid1(VALU_DEP_1)
	v_add_nc_u64_e32 v[14:15], v[4:5], v[18:19]
	s_wait_dscnt 0x0
	v_add_nc_u64_e32 v[4:5], v[20:21], v[14:15]
.LBB27_406:                             ;   in Loop: Header=BB27_399 Depth=1
	s_or_b32 exec_lo, exec_lo, s22
	ds_bpermute_b32 v20, v65, v14
	ds_bpermute_b32 v19, v65, v5
	s_mov_b32 s22, exec_lo
	v_cmpx_le_u32_e64 v66, v7
	s_cbranch_execz .LBB27_408
; %bb.407:                              ;   in Loop: Header=BB27_399 Depth=1
	s_wait_dscnt 0x2
	v_dual_mov_b32 v21, v13 :: v_dual_mov_b32 v18, v13
	s_wait_dscnt 0x1
	s_delay_alu instid0(VALU_DEP_1) | instskip(SKIP_1) | instid1(VALU_DEP_1)
	v_add_nc_u64_e32 v[14:15], v[4:5], v[20:21]
	s_wait_dscnt 0x0
	v_add_nc_u64_e32 v[4:5], v[18:19], v[14:15]
.LBB27_408:                             ;   in Loop: Header=BB27_399 Depth=1
	s_or_b32 exec_lo, exec_lo, s22
	s_wait_dscnt 0x1
	ds_bpermute_b32 v20, v67, v14
	s_wait_dscnt 0x1
	ds_bpermute_b32 v19, v67, v5
	s_mov_b32 s22, exec_lo
	v_cmpx_le_u32_e64 v68, v7
	s_cbranch_execz .LBB27_410
; %bb.409:                              ;   in Loop: Header=BB27_399 Depth=1
	v_dual_mov_b32 v21, v13 :: v_dual_mov_b32 v18, v13
	s_wait_dscnt 0x1
	s_delay_alu instid0(VALU_DEP_1) | instskip(SKIP_1) | instid1(VALU_DEP_1)
	v_add_nc_u64_e32 v[14:15], v[4:5], v[20:21]
	s_wait_dscnt 0x0
	v_add_nc_u64_e32 v[4:5], v[18:19], v[14:15]
.LBB27_410:                             ;   in Loop: Header=BB27_399 Depth=1
	s_or_b32 exec_lo, exec_lo, s22
	s_wait_dscnt 0x1
	ds_bpermute_b32 v20, v69, v14
	s_wait_dscnt 0x1
	ds_bpermute_b32 v19, v69, v5
	s_mov_b32 s22, exec_lo
	v_cmpx_le_u32_e64 v70, v7
	s_cbranch_execz .LBB27_412
; %bb.411:                              ;   in Loop: Header=BB27_399 Depth=1
	v_dual_mov_b32 v21, v13 :: v_dual_mov_b32 v18, v13
	s_wait_dscnt 0x1
	s_delay_alu instid0(VALU_DEP_1) | instskip(SKIP_1) | instid1(VALU_DEP_1)
	v_add_nc_u64_e32 v[14:15], v[4:5], v[20:21]
	s_wait_dscnt 0x0
	v_add_nc_u64_e32 v[4:5], v[18:19], v[14:15]
.LBB27_412:                             ;   in Loop: Header=BB27_399 Depth=1
	s_or_b32 exec_lo, exec_lo, s22
	ds_bpermute_b32 v18, v71, v14
	ds_bpermute_b32 v15, v71, v5
	s_mov_b32 s22, exec_lo
	v_cmpx_le_u32_e64 v72, v7
	s_cbranch_execz .LBB27_397
; %bb.413:                              ;   in Loop: Header=BB27_399 Depth=1
	s_wait_dscnt 0x2
	v_dual_mov_b32 v19, v13 :: v_dual_mov_b32 v14, v13
	s_wait_dscnt 0x1
	s_delay_alu instid0(VALU_DEP_1) | instskip(SKIP_1) | instid1(VALU_DEP_1)
	v_add_nc_u64_e32 v[4:5], v[4:5], v[18:19]
	s_wait_dscnt 0x0
	v_add_nc_u64_e32 v[4:5], v[4:5], v[14:15]
	s_branch .LBB27_397
.LBB27_414:
                                        ; implicit-def: $vgpr2_vgpr3
                                        ; implicit-def: $vgpr4_vgpr5
	s_cbranch_execnz .LBB27_420
	s_branch .LBB27_445
.LBB27_415:
	s_and_saveexec_b32 s22, s17
	s_cbranch_execz .LBB27_417
; %bb.416:
	s_add_co_i32 s24, s37, 32
	s_mov_b32 s25, 0
	v_dual_mov_b32 v6, 2 :: v_dual_mov_b32 v7, 0
	s_lshl_b64 s[24:25], s[24:25], 4
	v_add_nc_u64_e32 v[4:5], v[2:3], v[0:1]
	s_add_nc_u64 s[24:25], s[40:41], s[24:25]
	s_delay_alu instid0(SALU_CYCLE_1)
	v_mov_b64_e32 v[12:13], s[24:25]
	;;#ASMSTART
	global_store_b128 v[12:13], v[4:7] off scope:SCOPE_DEV	
s_wait_storecnt 0x0
	;;#ASMEND
	ds_store_b128 v7, v[0:3] offset:64
.LBB27_417:
	s_or_b32 exec_lo, exec_lo, s22
	s_delay_alu instid0(SALU_CYCLE_1)
	s_and_b32 exec_lo, exec_lo, s0
; %bb.418:
	v_mov_b32_e32 v0, 0
	ds_store_b64 v0, v[2:3] offset:56
.LBB27_419:
	s_or_b32 exec_lo, exec_lo, s18
	v_mov_b32_e32 v0, 0
	s_wait_dscnt 0x0
	s_barrier_signal -1
	s_barrier_wait -1
	ds_load_b64 v[4:5], v0 offset:56
	s_wait_dscnt 0x0
	s_barrier_signal -1
	s_barrier_wait -1
	ds_load_b128 v[0:3], v0 offset:64
	s_wait_dscnt 0x0
	v_dual_cndmask_b32 v1, 0, v11, s17 :: v_dual_cndmask_b32 v6, v62, v10, s17
	s_delay_alu instid0(VALU_DEP_1) | instskip(NEXT) | instid1(VALU_DEP_2)
	v_cndmask_b32_e64 v7, v1, 0, s0
	v_cndmask_b32_e64 v6, v6, 0, s0
	s_delay_alu instid0(VALU_DEP_1)
	v_add_nc_u64_e32 v[4:5], v[4:5], v[6:7]
	s_branch .LBB27_445
.LBB27_420:
	v_dual_mov_b32 v3, 0 :: v_dual_bitop2_b32 v6, 15, v61 bitop3:0x40
	v_mov_b64_e32 v[0:1], v[8:9]
	v_mov_b32_dpp v2, v8 row_shr:1 row_mask:0xf bank_mask:0xf
	s_mov_b32 s17, exec_lo
	s_delay_alu instid0(VALU_DEP_3)
	v_mov_b32_dpp v5, v3 row_shr:1 row_mask:0xf bank_mask:0xf
	v_cmpx_ne_u32_e32 0, v6
; %bb.421:
	v_mov_b32_e32 v4, 0
	s_delay_alu instid0(VALU_DEP_1) | instskip(NEXT) | instid1(VALU_DEP_1)
	v_mov_b32_e32 v3, v4
	v_add_nc_u64_e32 v[8:9], v[2:3], v[8:9]
	s_delay_alu instid0(VALU_DEP_1) | instskip(NEXT) | instid1(VALU_DEP_1)
	v_add_nc_u64_e32 v[2:3], v[4:5], v[8:9]
	v_mov_b64_e32 v[0:1], v[2:3]
; %bb.422:
	s_or_b32 exec_lo, exec_lo, s17
	v_mov_b32_dpp v2, v8 row_shr:2 row_mask:0xf bank_mask:0xf
	v_mov_b32_dpp v5, v3 row_shr:2 row_mask:0xf bank_mask:0xf
	s_mov_b32 s17, exec_lo
	v_cmpx_lt_u32_e32 1, v6
; %bb.423:
	v_mov_b32_e32 v4, 0
	s_delay_alu instid0(VALU_DEP_1) | instskip(NEXT) | instid1(VALU_DEP_1)
	v_mov_b32_e32 v3, v4
	v_add_nc_u64_e32 v[8:9], v[0:1], v[2:3]
	s_delay_alu instid0(VALU_DEP_1) | instskip(NEXT) | instid1(VALU_DEP_1)
	v_add_nc_u64_e32 v[2:3], v[4:5], v[8:9]
	v_mov_b64_e32 v[0:1], v[2:3]
; %bb.424:
	s_or_b32 exec_lo, exec_lo, s17
	v_mov_b32_dpp v2, v8 row_shr:4 row_mask:0xf bank_mask:0xf
	v_mov_b32_dpp v5, v3 row_shr:4 row_mask:0xf bank_mask:0xf
	s_mov_b32 s17, exec_lo
	v_cmpx_lt_u32_e32 3, v6
	;; [unrolled: 14-line block ×3, first 2 shown]
; %bb.427:
	v_mov_b32_e32 v4, 0
	s_delay_alu instid0(VALU_DEP_1) | instskip(NEXT) | instid1(VALU_DEP_1)
	v_mov_b32_e32 v3, v4
	v_add_nc_u64_e32 v[8:9], v[0:1], v[2:3]
	s_delay_alu instid0(VALU_DEP_1) | instskip(NEXT) | instid1(VALU_DEP_1)
	v_add_nc_u64_e32 v[0:1], v[4:5], v[8:9]
	v_mov_b32_e32 v3, v1
; %bb.428:
	s_or_b32 exec_lo, exec_lo, s17
	ds_swizzle_b32 v2, v8 offset:swizzle(BROADCAST,32,15)
	ds_swizzle_b32 v5, v3 offset:swizzle(BROADCAST,32,15)
	v_and_b32_e32 v3, 16, v61
	s_mov_b32 s17, exec_lo
	s_delay_alu instid0(VALU_DEP_1)
	v_cmpx_ne_u32_e32 0, v3
	s_cbranch_execz .LBB27_430
; %bb.429:
	v_mov_b32_e32 v4, 0
	s_delay_alu instid0(VALU_DEP_1) | instskip(SKIP_1) | instid1(VALU_DEP_1)
	v_mov_b32_e32 v3, v4
	s_wait_dscnt 0x1
	v_add_nc_u64_e32 v[8:9], v[0:1], v[2:3]
	s_wait_dscnt 0x0
	s_delay_alu instid0(VALU_DEP_1)
	v_add_nc_u64_e32 v[0:1], v[4:5], v[8:9]
.LBB27_430:
	s_or_b32 exec_lo, exec_lo, s17
	s_wait_dscnt 0x1
	v_and_b32_e32 v2, 0x3e0, v16
	s_mov_b32 s17, exec_lo
	v_lshrrev_b32_e32 v9, 5, v16
	s_delay_alu instid0(VALU_DEP_2) | instskip(NEXT) | instid1(VALU_DEP_1)
	v_min_u32_e32 v2, 0xe0, v2
	v_or_b32_e32 v2, 31, v2
	s_delay_alu instid0(VALU_DEP_1)
	v_cmpx_eq_u32_e64 v16, v2
; %bb.431:
	s_delay_alu instid0(VALU_DEP_4)
	v_lshlrev_b32_e32 v2, 3, v9
	ds_store_b64 v2, v[0:1]
; %bb.432:
	s_or_b32 exec_lo, exec_lo, s17
	s_delay_alu instid0(SALU_CYCLE_1)
	s_mov_b32 s17, exec_lo
	s_wait_dscnt 0x0
	s_barrier_signal -1
	s_barrier_wait -1
	v_cmpx_gt_u32_e32 8, v16
	s_cbranch_execz .LBB27_440
; %bb.433:
	v_dual_lshlrev_b32 v10, 3, v16 :: v_dual_bitop2_b32 v11, 7, v61 bitop3:0x40
	s_mov_b32 s18, exec_lo
	ds_load_b64 v[0:1], v10
	s_wait_dscnt 0x0
	v_mov_b32_dpp v4, v0 row_shr:1 row_mask:0xf bank_mask:0xf
	v_mov_b32_dpp v7, v1 row_shr:1 row_mask:0xf bank_mask:0xf
	v_mov_b32_e32 v2, v0
	v_cmpx_ne_u32_e32 0, v11
; %bb.434:
	v_mov_b32_e32 v6, 0
	s_delay_alu instid0(VALU_DEP_1) | instskip(NEXT) | instid1(VALU_DEP_1)
	v_mov_b32_e32 v5, v6
	v_add_nc_u64_e32 v[2:3], v[0:1], v[4:5]
	s_delay_alu instid0(VALU_DEP_1)
	v_add_nc_u64_e32 v[0:1], v[6:7], v[2:3]
; %bb.435:
	s_or_b32 exec_lo, exec_lo, s18
	v_mov_b32_dpp v4, v2 row_shr:2 row_mask:0xf bank_mask:0xf
	s_delay_alu instid0(VALU_DEP_2)
	v_mov_b32_dpp v7, v1 row_shr:2 row_mask:0xf bank_mask:0xf
	s_mov_b32 s18, exec_lo
	v_cmpx_lt_u32_e32 1, v11
; %bb.436:
	v_mov_b32_e32 v6, 0
	s_delay_alu instid0(VALU_DEP_1) | instskip(NEXT) | instid1(VALU_DEP_1)
	v_mov_b32_e32 v5, v6
	v_add_nc_u64_e32 v[2:3], v[0:1], v[4:5]
	s_delay_alu instid0(VALU_DEP_1)
	v_add_nc_u64_e32 v[0:1], v[6:7], v[2:3]
; %bb.437:
	s_or_b32 exec_lo, exec_lo, s18
	v_mov_b32_dpp v2, v2 row_shr:4 row_mask:0xf bank_mask:0xf
	s_delay_alu instid0(VALU_DEP_2)
	v_mov_b32_dpp v5, v1 row_shr:4 row_mask:0xf bank_mask:0xf
	s_mov_b32 s18, exec_lo
	v_cmpx_lt_u32_e32 3, v11
; %bb.438:
	v_mov_b32_e32 v4, 0
	s_delay_alu instid0(VALU_DEP_1) | instskip(NEXT) | instid1(VALU_DEP_1)
	v_mov_b32_e32 v3, v4
	v_add_nc_u64_e32 v[0:1], v[0:1], v[2:3]
	s_delay_alu instid0(VALU_DEP_1)
	v_add_nc_u64_e32 v[0:1], v[0:1], v[4:5]
; %bb.439:
	s_or_b32 exec_lo, exec_lo, s18
	ds_store_b64 v10, v[0:1]
.LBB27_440:
	s_or_b32 exec_lo, exec_lo, s17
	v_mov_b64_e32 v[2:3], 0
	s_mov_b32 s17, exec_lo
	s_wait_dscnt 0x0
	s_barrier_signal -1
	s_barrier_wait -1
	v_cmpx_lt_u32_e32 31, v16
; %bb.441:
	v_lshl_add_u32 v0, v9, 3, -8
	ds_load_b64 v[2:3], v0
; %bb.442:
	s_or_b32 exec_lo, exec_lo, s17
	v_sub_co_u32 v0, vcc_lo, v61, 1
	s_wait_dscnt 0x0
	v_mov_b32_e32 v3, 0
	s_delay_alu instid0(VALU_DEP_2) | instskip(NEXT) | instid1(VALU_DEP_1)
	v_cmp_gt_i32_e64 s17, 0, v0
	v_cndmask_b32_e64 v0, v0, v61, s17
	s_delay_alu instid0(VALU_DEP_1)
	v_dual_add_nc_u32 v1, v8, v2 :: v_dual_lshlrev_b32 v0, 2, v0
	ds_bpermute_b32 v4, v0, v1
	ds_load_b64 v[0:1], v3 offset:56
	s_wait_dscnt 0x1
	v_cndmask_b32_e32 v4, v4, v2, vcc_lo
	s_and_saveexec_b32 s17, s0
	s_cbranch_execz .LBB27_444
; %bb.443:
	s_add_nc_u64 s[22:23], s[40:41], 0x200
	v_mov_b32_e32 v2, 2
	v_mov_b64_e32 v[6:7], s[22:23]
	s_wait_dscnt 0x0
	;;#ASMSTART
	global_store_b128 v[6:7], v[0:3] off scope:SCOPE_DEV	
s_wait_storecnt 0x0
	;;#ASMEND
.LBB27_444:
	s_or_b32 exec_lo, exec_lo, s17
	v_mov_b64_e32 v[2:3], 0
.LBB27_445:
	s_wait_dscnt 0x0
	s_delay_alu instid0(VALU_DEP_1)
	v_sub_nc_u32_e32 v1, v4, v2
	s_barrier_signal -1
	s_barrier_wait -1
	s_and_saveexec_b32 s0, s39
	s_cbranch_execnz .LBB27_483
; %bb.446:
	s_or_b32 exec_lo, exec_lo, s0
	s_and_saveexec_b32 s0, s38
	s_cbranch_execnz .LBB27_484
.LBB27_447:
	s_or_b32 exec_lo, exec_lo, s0
	s_and_saveexec_b32 s0, s36
	s_cbranch_execnz .LBB27_485
.LBB27_448:
	s_or_b32 exec_lo, exec_lo, s0
	s_and_saveexec_b32 s0, s20
	s_cbranch_execnz .LBB27_486
.LBB27_449:
	s_or_b32 exec_lo, exec_lo, s0
	s_and_saveexec_b32 s0, s21
	s_cbranch_execnz .LBB27_487
.LBB27_450:
	s_or_b32 exec_lo, exec_lo, s0
	s_and_saveexec_b32 s0, s19
.LBB27_451:
	v_cndmask_b32_e64 v4, v34, v33, s6
	v_dual_lshlrev_b32 v5, 2, v1 :: v_dual_add_nc_u32 v1, 1, v1
	ds_store_b32 v5, v4 offset:1024
.LBB27_452:
	s_or_b32 exec_lo, exec_lo, s0
	v_and_b32_e32 v4, 64, v60
	s_mov_b32 s0, exec_lo
	s_delay_alu instid0(VALU_DEP_1)
	v_cmpx_ne_u32_e32 0, v4
; %bb.453:
	v_dual_cndmask_b32 v4, v36, v35, s7 :: v_dual_lshlrev_b32 v5, 2, v1
	v_add_nc_u32_e32 v1, 1, v1
	ds_store_b32 v5, v4 offset:1024
; %bb.454:
	s_or_b32 exec_lo, exec_lo, s0
	v_and_b32_e32 v4, 0x80, v59
	s_mov_b32 s0, exec_lo
	s_delay_alu instid0(VALU_DEP_1)
	v_cmpx_ne_u32_e32 0, v4
; %bb.455:
	v_cndmask_b32_e64 v4, v38, v37, s8
	v_dual_lshlrev_b32 v5, 2, v1 :: v_dual_add_nc_u32 v1, 1, v1
	ds_store_b32 v5, v4 offset:1024
; %bb.456:
	s_or_b32 exec_lo, exec_lo, s0
	v_and_b32_e32 v4, 0x100, v58
	s_mov_b32 s0, exec_lo
	s_delay_alu instid0(VALU_DEP_1)
	v_cmpx_ne_u32_e32 0, v4
; %bb.457:
	v_dual_cndmask_b32 v4, v40, v39, s9 :: v_dual_lshlrev_b32 v5, 2, v1
	v_add_nc_u32_e32 v1, 1, v1
	ds_store_b32 v5, v4 offset:1024
; %bb.458:
	s_or_b32 exec_lo, exec_lo, s0
	v_and_b32_e32 v4, 0x200, v58
	s_mov_b32 s0, exec_lo
	s_delay_alu instid0(VALU_DEP_1)
	v_cmpx_ne_u32_e32 0, v4
; %bb.459:
	v_cndmask_b32_e64 v4, v42, v41, s10
	v_dual_lshlrev_b32 v5, 2, v1 :: v_dual_add_nc_u32 v1, 1, v1
	ds_store_b32 v5, v4 offset:1024
; %bb.460:
	;; [unrolled: 20-line block ×4, first 2 shown]
	s_or_b32 exec_lo, exec_lo, s0
	v_and_b32_e32 v4, 0x4000, v55
	s_mov_b32 s0, exec_lo
	s_delay_alu instid0(VALU_DEP_1)
	v_cmpx_ne_u32_e32 0, v4
; %bb.469:
	v_dual_cndmask_b32 v4, v52, v51, s15 :: v_dual_lshlrev_b32 v5, 2, v1
	v_add_nc_u32_e32 v1, 1, v1
	ds_store_b32 v5, v4 offset:1024
; %bb.470:
	s_or_b32 exec_lo, exec_lo, s0
	v_and_b32_e32 v4, 0x8000, v55
	s_mov_b32 s0, exec_lo
	s_delay_alu instid0(VALU_DEP_1)
	v_cmpx_ne_u32_e32 0, v4
; %bb.471:
	v_cndmask_b32_e64 v4, v54, v53, s16
	v_lshlrev_b32_e32 v1, 2, v1
	ds_store_b32 v1, v4 offset:1024
; %bb.472:
	s_or_b32 exec_lo, exec_lo, s0
	s_wait_dscnt 0x0
	s_barrier_signal -1
	s_barrier_wait -1
	s_mov_b32 s0, exec_lo
	v_cmpx_lt_i32_e64 v16, v0
	s_cbranch_execz .LBB27_482
; %bb.473:
	v_lshlrev_b64_e32 v[2:3], 2, v[2:3]
	v_xad_u32 v1, v16, -1, v0
	s_mov_b32 s1, -1
	s_mov_b32 s0, exec_lo
	s_delay_alu instid0(VALU_DEP_1)
	v_cmpx_lt_u32_e32 0xff, v1
	s_cbranch_execz .LBB27_479
; %bb.474:
	v_dual_lshrrev_b32 v1, 8, v1 :: v_dual_mov_b32 v17, v22
	v_add_nc_u64_e32 v[4:5], s[42:43], v[2:3]
	v_lshl_add_u32 v11, v16, 2, 0x400
	s_mov_b32 s1, 0
	s_delay_alu instid0(VALU_DEP_3) | instskip(SKIP_1) | instid1(VALU_DEP_2)
	v_dual_mov_b32 v7, 0 :: v_dual_add_nc_u32 v10, 1, v1
	v_mov_b64_e32 v[8:9], v[16:17]
	v_and_b32_e32 v1, 0x1fffffe, v10
	s_delay_alu instid0(VALU_DEP_1)
	v_mov_b32_e32 v12, v1
.LBB27_475:                             ; =>This Inner Loop Header: Depth=1
	ds_load_2addr_stride64_b32 v[14:15], v11 offset1:4
	v_dual_mov_b32 v6, v8 :: v_dual_add_nc_u32 v12, -2, v12
	v_add_nc_u32_e32 v8, 0x200, v8
	v_add_nc_u32_e32 v11, 0x800, v11
	s_delay_alu instid0(VALU_DEP_3) | instskip(SKIP_3) | instid1(VALU_DEP_3)
	v_lshl_add_u64 v[18:19], v[6:7], 2, v[4:5]
	v_mov_b32_e32 v6, v9
	v_cmp_eq_u32_e32 vcc_lo, 0, v12
	v_add_nc_u32_e32 v9, 0x200, v9
	v_lshl_add_u64 v[20:21], v[6:7], 2, v[4:5]
	s_or_b32 s1, vcc_lo, s1
	s_wait_dscnt 0x0
	s_clause 0x1
	global_store_b32 v[18:19], v14, off
	global_store_b32 v[20:21], v15, off
	s_wait_xcnt 0x0
	s_and_not1_b32 exec_lo, exec_lo, s1
	s_cbranch_execnz .LBB27_475
; %bb.476:
	s_or_b32 exec_lo, exec_lo, s1
	s_mov_b32 s1, 0
	s_mov_b32 s2, exec_lo
	v_cmpx_ne_u32_e64 v10, v1
; %bb.477:
	v_lshl_add_u32 v16, v1, 8, v16
	v_mov_b32_e32 v17, 0
	s_mov_b32 s1, exec_lo
; %bb.478:
	s_or_b32 exec_lo, exec_lo, s2
	s_delay_alu instid0(SALU_CYCLE_1)
	s_or_not1_b32 s1, s1, exec_lo
.LBB27_479:
	s_or_b32 exec_lo, exec_lo, s0
	s_delay_alu instid0(SALU_CYCLE_1)
	s_and_b32 exec_lo, exec_lo, s1
	s_cbranch_execz .LBB27_482
; %bb.480:
	v_add_nc_u64_e32 v[2:3], s[42:43], v[2:3]
	v_lshl_add_u32 v1, v16, 2, 0x400
	s_mov_b32 s0, 0
	s_delay_alu instid0(VALU_DEP_2)
	v_lshl_add_u64 v[2:3], v[16:17], 2, v[2:3]
.LBB27_481:                             ; =>This Inner Loop Header: Depth=1
	ds_load_b32 v4, v1
	v_add_nc_u32_e32 v16, 0x100, v16
	v_add_nc_u32_e32 v1, 0x400, v1
	s_delay_alu instid0(VALU_DEP_2)
	v_cmp_ge_i32_e32 vcc_lo, v16, v0
	s_or_b32 s0, vcc_lo, s0
	s_wait_dscnt 0x0
	global_store_b32 v[2:3], v4, off
	s_wait_xcnt 0x0
	v_add_nc_u64_e32 v[2:3], 0x400, v[2:3]
	s_and_not1_b32 exec_lo, exec_lo, s0
	s_cbranch_execnz .LBB27_481
.LBB27_482:
	s_sendmsg sendmsg(MSG_DEALLOC_VGPRS)
	s_endpgm
.LBB27_483:
	v_dual_add_nc_u32 v4, 1, v1 :: v_dual_cndmask_b32 v5, v24, v23, s1
	s_delay_alu instid0(VALU_DEP_1)
	v_dual_mov_b32 v1, v4 :: v_dual_lshlrev_b32 v6, 2, v1
	ds_store_b32 v6, v5 offset:1024
	s_or_b32 exec_lo, exec_lo, s0
	s_and_saveexec_b32 s0, s38
	s_cbranch_execz .LBB27_447
.LBB27_484:
	v_cndmask_b32_e64 v4, v26, v25, s2
	v_dual_lshlrev_b32 v5, 2, v1 :: v_dual_add_nc_u32 v1, 1, v1
	ds_store_b32 v5, v4 offset:1024
	s_or_b32 exec_lo, exec_lo, s0
	s_and_saveexec_b32 s0, s36
	s_cbranch_execz .LBB27_448
.LBB27_485:
	v_dual_cndmask_b32 v4, v28, v27, s3 :: v_dual_lshlrev_b32 v5, 2, v1
	v_add_nc_u32_e32 v1, 1, v1
	ds_store_b32 v5, v4 offset:1024
	s_or_b32 exec_lo, exec_lo, s0
	s_and_saveexec_b32 s0, s20
	s_cbranch_execz .LBB27_449
.LBB27_486:
	v_cndmask_b32_e64 v4, v30, v29, s4
	v_dual_lshlrev_b32 v5, 2, v1 :: v_dual_add_nc_u32 v1, 1, v1
	ds_store_b32 v5, v4 offset:1024
	s_or_b32 exec_lo, exec_lo, s0
	s_and_saveexec_b32 s0, s21
	s_cbranch_execz .LBB27_450
.LBB27_487:
	v_dual_cndmask_b32 v4, v32, v31, s5 :: v_dual_lshlrev_b32 v5, 2, v1
	v_add_nc_u32_e32 v1, 1, v1
	ds_store_b32 v5, v4 offset:1024
	s_or_b32 exec_lo, exec_lo, s0
	s_and_saveexec_b32 s0, s19
	s_cbranch_execnz .LBB27_451
	s_branch .LBB27_452
	.section	.rodata,"a",@progbits
	.p2align	6, 0x0
	.amdhsa_kernel _ZN6thrust23THRUST_200600_302600_NS11hip_rocprim16__set_operations22lookback_set_op_kernelIN7rocprim17ROCPRIM_400000_NS13kernel_configILj256ELj16ELj4294967295EEELb0ENS0_6detail15normal_iteratorINS0_10device_ptrIKiEEEESD_PiSE_lNS9_INSA_IiEEEESE_NS0_4lessIiEENS2_31serial_set_symmetric_differenceENS5_6detail19lookback_scan_stateIlLb0ELb1EEEEEvT1_T2_T3_T4_T6_T7_T8_T9_PNS0_4pairIT5_SW_EEPSW_T10_NSK_16ordered_block_idIjEE
		.amdhsa_group_segment_fixed_size 36868
		.amdhsa_private_segment_fixed_size 0
		.amdhsa_kernarg_size 344
		.amdhsa_user_sgpr_count 2
		.amdhsa_user_sgpr_dispatch_ptr 0
		.amdhsa_user_sgpr_queue_ptr 0
		.amdhsa_user_sgpr_kernarg_segment_ptr 1
		.amdhsa_user_sgpr_dispatch_id 0
		.amdhsa_user_sgpr_kernarg_preload_length 0
		.amdhsa_user_sgpr_kernarg_preload_offset 0
		.amdhsa_user_sgpr_private_segment_size 0
		.amdhsa_wavefront_size32 1
		.amdhsa_uses_dynamic_stack 0
		.amdhsa_enable_private_segment 0
		.amdhsa_system_sgpr_workgroup_id_x 1
		.amdhsa_system_sgpr_workgroup_id_y 0
		.amdhsa_system_sgpr_workgroup_id_z 0
		.amdhsa_system_sgpr_workgroup_info 0
		.amdhsa_system_vgpr_workitem_id 2
		.amdhsa_next_free_vgpr 77
		.amdhsa_next_free_sgpr 58
		.amdhsa_named_barrier_count 0
		.amdhsa_reserve_vcc 1
		.amdhsa_float_round_mode_32 0
		.amdhsa_float_round_mode_16_64 0
		.amdhsa_float_denorm_mode_32 3
		.amdhsa_float_denorm_mode_16_64 3
		.amdhsa_fp16_overflow 0
		.amdhsa_memory_ordered 1
		.amdhsa_forward_progress 1
		.amdhsa_inst_pref_size 173
		.amdhsa_round_robin_scheduling 0
		.amdhsa_exception_fp_ieee_invalid_op 0
		.amdhsa_exception_fp_denorm_src 0
		.amdhsa_exception_fp_ieee_div_zero 0
		.amdhsa_exception_fp_ieee_overflow 0
		.amdhsa_exception_fp_ieee_underflow 0
		.amdhsa_exception_fp_ieee_inexact 0
		.amdhsa_exception_int_div_zero 0
	.end_amdhsa_kernel
	.section	.text._ZN6thrust23THRUST_200600_302600_NS11hip_rocprim16__set_operations22lookback_set_op_kernelIN7rocprim17ROCPRIM_400000_NS13kernel_configILj256ELj16ELj4294967295EEELb0ENS0_6detail15normal_iteratorINS0_10device_ptrIKiEEEESD_PiSE_lNS9_INSA_IiEEEESE_NS0_4lessIiEENS2_31serial_set_symmetric_differenceENS5_6detail19lookback_scan_stateIlLb0ELb1EEEEEvT1_T2_T3_T4_T6_T7_T8_T9_PNS0_4pairIT5_SW_EEPSW_T10_NSK_16ordered_block_idIjEE,"axG",@progbits,_ZN6thrust23THRUST_200600_302600_NS11hip_rocprim16__set_operations22lookback_set_op_kernelIN7rocprim17ROCPRIM_400000_NS13kernel_configILj256ELj16ELj4294967295EEELb0ENS0_6detail15normal_iteratorINS0_10device_ptrIKiEEEESD_PiSE_lNS9_INSA_IiEEEESE_NS0_4lessIiEENS2_31serial_set_symmetric_differenceENS5_6detail19lookback_scan_stateIlLb0ELb1EEEEEvT1_T2_T3_T4_T6_T7_T8_T9_PNS0_4pairIT5_SW_EEPSW_T10_NSK_16ordered_block_idIjEE,comdat
.Lfunc_end27:
	.size	_ZN6thrust23THRUST_200600_302600_NS11hip_rocprim16__set_operations22lookback_set_op_kernelIN7rocprim17ROCPRIM_400000_NS13kernel_configILj256ELj16ELj4294967295EEELb0ENS0_6detail15normal_iteratorINS0_10device_ptrIKiEEEESD_PiSE_lNS9_INSA_IiEEEESE_NS0_4lessIiEENS2_31serial_set_symmetric_differenceENS5_6detail19lookback_scan_stateIlLb0ELb1EEEEEvT1_T2_T3_T4_T6_T7_T8_T9_PNS0_4pairIT5_SW_EEPSW_T10_NSK_16ordered_block_idIjEE, .Lfunc_end27-_ZN6thrust23THRUST_200600_302600_NS11hip_rocprim16__set_operations22lookback_set_op_kernelIN7rocprim17ROCPRIM_400000_NS13kernel_configILj256ELj16ELj4294967295EEELb0ENS0_6detail15normal_iteratorINS0_10device_ptrIKiEEEESD_PiSE_lNS9_INSA_IiEEEESE_NS0_4lessIiEENS2_31serial_set_symmetric_differenceENS5_6detail19lookback_scan_stateIlLb0ELb1EEEEEvT1_T2_T3_T4_T6_T7_T8_T9_PNS0_4pairIT5_SW_EEPSW_T10_NSK_16ordered_block_idIjEE
                                        ; -- End function
	.set _ZN6thrust23THRUST_200600_302600_NS11hip_rocprim16__set_operations22lookback_set_op_kernelIN7rocprim17ROCPRIM_400000_NS13kernel_configILj256ELj16ELj4294967295EEELb0ENS0_6detail15normal_iteratorINS0_10device_ptrIKiEEEESD_PiSE_lNS9_INSA_IiEEEESE_NS0_4lessIiEENS2_31serial_set_symmetric_differenceENS5_6detail19lookback_scan_stateIlLb0ELb1EEEEEvT1_T2_T3_T4_T6_T7_T8_T9_PNS0_4pairIT5_SW_EEPSW_T10_NSK_16ordered_block_idIjEE.num_vgpr, 77
	.set _ZN6thrust23THRUST_200600_302600_NS11hip_rocprim16__set_operations22lookback_set_op_kernelIN7rocprim17ROCPRIM_400000_NS13kernel_configILj256ELj16ELj4294967295EEELb0ENS0_6detail15normal_iteratorINS0_10device_ptrIKiEEEESD_PiSE_lNS9_INSA_IiEEEESE_NS0_4lessIiEENS2_31serial_set_symmetric_differenceENS5_6detail19lookback_scan_stateIlLb0ELb1EEEEEvT1_T2_T3_T4_T6_T7_T8_T9_PNS0_4pairIT5_SW_EEPSW_T10_NSK_16ordered_block_idIjEE.num_agpr, 0
	.set _ZN6thrust23THRUST_200600_302600_NS11hip_rocprim16__set_operations22lookback_set_op_kernelIN7rocprim17ROCPRIM_400000_NS13kernel_configILj256ELj16ELj4294967295EEELb0ENS0_6detail15normal_iteratorINS0_10device_ptrIKiEEEESD_PiSE_lNS9_INSA_IiEEEESE_NS0_4lessIiEENS2_31serial_set_symmetric_differenceENS5_6detail19lookback_scan_stateIlLb0ELb1EEEEEvT1_T2_T3_T4_T6_T7_T8_T9_PNS0_4pairIT5_SW_EEPSW_T10_NSK_16ordered_block_idIjEE.numbered_sgpr, 58
	.set _ZN6thrust23THRUST_200600_302600_NS11hip_rocprim16__set_operations22lookback_set_op_kernelIN7rocprim17ROCPRIM_400000_NS13kernel_configILj256ELj16ELj4294967295EEELb0ENS0_6detail15normal_iteratorINS0_10device_ptrIKiEEEESD_PiSE_lNS9_INSA_IiEEEESE_NS0_4lessIiEENS2_31serial_set_symmetric_differenceENS5_6detail19lookback_scan_stateIlLb0ELb1EEEEEvT1_T2_T3_T4_T6_T7_T8_T9_PNS0_4pairIT5_SW_EEPSW_T10_NSK_16ordered_block_idIjEE.num_named_barrier, 0
	.set _ZN6thrust23THRUST_200600_302600_NS11hip_rocprim16__set_operations22lookback_set_op_kernelIN7rocprim17ROCPRIM_400000_NS13kernel_configILj256ELj16ELj4294967295EEELb0ENS0_6detail15normal_iteratorINS0_10device_ptrIKiEEEESD_PiSE_lNS9_INSA_IiEEEESE_NS0_4lessIiEENS2_31serial_set_symmetric_differenceENS5_6detail19lookback_scan_stateIlLb0ELb1EEEEEvT1_T2_T3_T4_T6_T7_T8_T9_PNS0_4pairIT5_SW_EEPSW_T10_NSK_16ordered_block_idIjEE.private_seg_size, 0
	.set _ZN6thrust23THRUST_200600_302600_NS11hip_rocprim16__set_operations22lookback_set_op_kernelIN7rocprim17ROCPRIM_400000_NS13kernel_configILj256ELj16ELj4294967295EEELb0ENS0_6detail15normal_iteratorINS0_10device_ptrIKiEEEESD_PiSE_lNS9_INSA_IiEEEESE_NS0_4lessIiEENS2_31serial_set_symmetric_differenceENS5_6detail19lookback_scan_stateIlLb0ELb1EEEEEvT1_T2_T3_T4_T6_T7_T8_T9_PNS0_4pairIT5_SW_EEPSW_T10_NSK_16ordered_block_idIjEE.uses_vcc, 1
	.set _ZN6thrust23THRUST_200600_302600_NS11hip_rocprim16__set_operations22lookback_set_op_kernelIN7rocprim17ROCPRIM_400000_NS13kernel_configILj256ELj16ELj4294967295EEELb0ENS0_6detail15normal_iteratorINS0_10device_ptrIKiEEEESD_PiSE_lNS9_INSA_IiEEEESE_NS0_4lessIiEENS2_31serial_set_symmetric_differenceENS5_6detail19lookback_scan_stateIlLb0ELb1EEEEEvT1_T2_T3_T4_T6_T7_T8_T9_PNS0_4pairIT5_SW_EEPSW_T10_NSK_16ordered_block_idIjEE.uses_flat_scratch, 0
	.set _ZN6thrust23THRUST_200600_302600_NS11hip_rocprim16__set_operations22lookback_set_op_kernelIN7rocprim17ROCPRIM_400000_NS13kernel_configILj256ELj16ELj4294967295EEELb0ENS0_6detail15normal_iteratorINS0_10device_ptrIKiEEEESD_PiSE_lNS9_INSA_IiEEEESE_NS0_4lessIiEENS2_31serial_set_symmetric_differenceENS5_6detail19lookback_scan_stateIlLb0ELb1EEEEEvT1_T2_T3_T4_T6_T7_T8_T9_PNS0_4pairIT5_SW_EEPSW_T10_NSK_16ordered_block_idIjEE.has_dyn_sized_stack, 0
	.set _ZN6thrust23THRUST_200600_302600_NS11hip_rocprim16__set_operations22lookback_set_op_kernelIN7rocprim17ROCPRIM_400000_NS13kernel_configILj256ELj16ELj4294967295EEELb0ENS0_6detail15normal_iteratorINS0_10device_ptrIKiEEEESD_PiSE_lNS9_INSA_IiEEEESE_NS0_4lessIiEENS2_31serial_set_symmetric_differenceENS5_6detail19lookback_scan_stateIlLb0ELb1EEEEEvT1_T2_T3_T4_T6_T7_T8_T9_PNS0_4pairIT5_SW_EEPSW_T10_NSK_16ordered_block_idIjEE.has_recursion, 0
	.set _ZN6thrust23THRUST_200600_302600_NS11hip_rocprim16__set_operations22lookback_set_op_kernelIN7rocprim17ROCPRIM_400000_NS13kernel_configILj256ELj16ELj4294967295EEELb0ENS0_6detail15normal_iteratorINS0_10device_ptrIKiEEEESD_PiSE_lNS9_INSA_IiEEEESE_NS0_4lessIiEENS2_31serial_set_symmetric_differenceENS5_6detail19lookback_scan_stateIlLb0ELb1EEEEEvT1_T2_T3_T4_T6_T7_T8_T9_PNS0_4pairIT5_SW_EEPSW_T10_NSK_16ordered_block_idIjEE.has_indirect_call, 0
	.section	.AMDGPU.csdata,"",@progbits
; Kernel info:
; codeLenInByte = 22092
; TotalNumSgprs: 60
; NumVgprs: 77
; ScratchSize: 0
; MemoryBound: 0
; FloatMode: 240
; IeeeMode: 1
; LDSByteSize: 36868 bytes/workgroup (compile time only)
; SGPRBlocks: 0
; VGPRBlocks: 4
; NumSGPRsForWavesPerEU: 60
; NumVGPRsForWavesPerEU: 77
; NamedBarCnt: 0
; Occupancy: 12
; WaveLimiterHint : 1
; COMPUTE_PGM_RSRC2:SCRATCH_EN: 0
; COMPUTE_PGM_RSRC2:USER_SGPR: 2
; COMPUTE_PGM_RSRC2:TRAP_HANDLER: 0
; COMPUTE_PGM_RSRC2:TGID_X_EN: 1
; COMPUTE_PGM_RSRC2:TGID_Y_EN: 0
; COMPUTE_PGM_RSRC2:TGID_Z_EN: 0
; COMPUTE_PGM_RSRC2:TIDIG_COMP_CNT: 2
	.section	.text._ZN6thrust23THRUST_200600_302600_NS11hip_rocprim14__parallel_for6kernelILj256EZNS1_16__set_operations9doit_stepILb0ENS0_6detail15normal_iteratorINS0_10device_ptrIKiEEEESB_PiSC_lNS0_16discard_iteratorINS0_11use_defaultEEESC_NS0_4lessIiEENS4_23serial_set_intersectionEEE10hipError_tPvRmT0_T1_T2_T3_T4_SQ_T5_T6_PSQ_T7_T8_P12ihipStream_tbEUllE_jLj1EEEvSM_SN_SN_,"axG",@progbits,_ZN6thrust23THRUST_200600_302600_NS11hip_rocprim14__parallel_for6kernelILj256EZNS1_16__set_operations9doit_stepILb0ENS0_6detail15normal_iteratorINS0_10device_ptrIKiEEEESB_PiSC_lNS0_16discard_iteratorINS0_11use_defaultEEESC_NS0_4lessIiEENS4_23serial_set_intersectionEEE10hipError_tPvRmT0_T1_T2_T3_T4_SQ_T5_T6_PSQ_T7_T8_P12ihipStream_tbEUllE_jLj1EEEvSM_SN_SN_,comdat
	.protected	_ZN6thrust23THRUST_200600_302600_NS11hip_rocprim14__parallel_for6kernelILj256EZNS1_16__set_operations9doit_stepILb0ENS0_6detail15normal_iteratorINS0_10device_ptrIKiEEEESB_PiSC_lNS0_16discard_iteratorINS0_11use_defaultEEESC_NS0_4lessIiEENS4_23serial_set_intersectionEEE10hipError_tPvRmT0_T1_T2_T3_T4_SQ_T5_T6_PSQ_T7_T8_P12ihipStream_tbEUllE_jLj1EEEvSM_SN_SN_ ; -- Begin function _ZN6thrust23THRUST_200600_302600_NS11hip_rocprim14__parallel_for6kernelILj256EZNS1_16__set_operations9doit_stepILb0ENS0_6detail15normal_iteratorINS0_10device_ptrIKiEEEESB_PiSC_lNS0_16discard_iteratorINS0_11use_defaultEEESC_NS0_4lessIiEENS4_23serial_set_intersectionEEE10hipError_tPvRmT0_T1_T2_T3_T4_SQ_T5_T6_PSQ_T7_T8_P12ihipStream_tbEUllE_jLj1EEEvSM_SN_SN_
	.globl	_ZN6thrust23THRUST_200600_302600_NS11hip_rocprim14__parallel_for6kernelILj256EZNS1_16__set_operations9doit_stepILb0ENS0_6detail15normal_iteratorINS0_10device_ptrIKiEEEESB_PiSC_lNS0_16discard_iteratorINS0_11use_defaultEEESC_NS0_4lessIiEENS4_23serial_set_intersectionEEE10hipError_tPvRmT0_T1_T2_T3_T4_SQ_T5_T6_PSQ_T7_T8_P12ihipStream_tbEUllE_jLj1EEEvSM_SN_SN_
	.p2align	8
	.type	_ZN6thrust23THRUST_200600_302600_NS11hip_rocprim14__parallel_for6kernelILj256EZNS1_16__set_operations9doit_stepILb0ENS0_6detail15normal_iteratorINS0_10device_ptrIKiEEEESB_PiSC_lNS0_16discard_iteratorINS0_11use_defaultEEESC_NS0_4lessIiEENS4_23serial_set_intersectionEEE10hipError_tPvRmT0_T1_T2_T3_T4_SQ_T5_T6_PSQ_T7_T8_P12ihipStream_tbEUllE_jLj1EEEvSM_SN_SN_,@function
_ZN6thrust23THRUST_200600_302600_NS11hip_rocprim14__parallel_for6kernelILj256EZNS1_16__set_operations9doit_stepILb0ENS0_6detail15normal_iteratorINS0_10device_ptrIKiEEEESB_PiSC_lNS0_16discard_iteratorINS0_11use_defaultEEESC_NS0_4lessIiEENS4_23serial_set_intersectionEEE10hipError_tPvRmT0_T1_T2_T3_T4_SQ_T5_T6_PSQ_T7_T8_P12ihipStream_tbEUllE_jLj1EEEvSM_SN_SN_: ; @_ZN6thrust23THRUST_200600_302600_NS11hip_rocprim14__parallel_for6kernelILj256EZNS1_16__set_operations9doit_stepILb0ENS0_6detail15normal_iteratorINS0_10device_ptrIKiEEEESB_PiSC_lNS0_16discard_iteratorINS0_11use_defaultEEESC_NS0_4lessIiEENS4_23serial_set_intersectionEEE10hipError_tPvRmT0_T1_T2_T3_T4_SQ_T5_T6_PSQ_T7_T8_P12ihipStream_tbEUllE_jLj1EEEvSM_SN_SN_
; %bb.0:
	s_clause 0x2
	s_load_b64 s[12:13], s[0:1], 0x30
	s_load_b64 s[2:3], s[0:1], 0x20
	s_load_b256 s[4:11], s[0:1], 0x0
	s_wait_xcnt 0x0
	s_bfe_u32 s0, ttmp6, 0x4000c
	s_and_b32 s1, ttmp6, 15
	s_add_co_i32 s0, s0, 1
	s_getreg_b32 s14, hwreg(HW_REG_IB_STS2, 6, 4)
	s_mul_i32 s0, ttmp9, s0
	s_delay_alu instid0(SALU_CYCLE_1) | instskip(SKIP_2) | instid1(SALU_CYCLE_1)
	s_add_co_i32 s1, s1, s0
	s_cmp_eq_u32 s14, 0
	s_cselect_b32 s0, ttmp9, s1
	s_lshl_b32 s0, s0, 8
	s_wait_kmcnt 0x0
	s_add_co_i32 s1, s13, s0
	s_mov_b32 s0, -1
	s_sub_co_i32 s12, s12, s1
	s_delay_alu instid0(SALU_CYCLE_1)
	s_cmp_gt_u32 s12, 0xff
	s_cbranch_scc0 .LBB28_3
; %bb.1:
	s_and_not1_b32 vcc_lo, exec_lo, s0
	s_cbranch_vccz .LBB28_40
.LBB28_2:
	s_endpgm
.LBB28_3:
	v_cmp_gt_u32_e32 vcc_lo, s12, v0
	s_and_saveexec_b32 s12, vcc_lo
	s_cbranch_execz .LBB28_39
; %bb.4:
	v_dual_mov_b32 v7, 0 :: v_dual_add_nc_u32 v6, s1, v0
	s_add_nc_u64 s[14:15], s[6:7], s[4:5]
	s_mov_b32 s0, exec_lo
	s_delay_alu instid0(VALU_DEP_1) | instskip(NEXT) | instid1(VALU_DEP_1)
	v_mul_u64_e32 v[2:3], 0xfff, v[6:7]
	v_min_i64 v[4:5], s[14:15], v[2:3]
	s_delay_alu instid0(VALU_DEP_1) | instskip(SKIP_1) | instid1(VALU_DEP_2)
	v_sub_nc_u64_e64 v[2:3], v[4:5], s[6:7]
	v_min_i64 v[8:9], s[4:5], v[4:5]
	v_max_i64 v[2:3], v[2:3], 0
	s_delay_alu instid0(VALU_DEP_1)
	v_cmpx_lt_i64_e64 v[2:3], v[8:9]
	s_cbranch_execz .LBB28_8
; %bb.5:
	v_lshl_add_u64 v[10:11], v[4:5], 2, s[2:3]
	s_mov_b32 s13, 0
.LBB28_6:                               ; =>This Inner Loop Header: Depth=1
	v_add_nc_u64_e32 v[12:13], v[8:9], v[2:3]
	s_delay_alu instid0(VALU_DEP_1) | instskip(NEXT) | instid1(VALU_DEP_1)
	v_lshrrev_b64 v[12:13], 1, v[12:13]
	v_lshlrev_b64_e32 v[14:15], 2, v[12:13]
	s_delay_alu instid0(VALU_DEP_1) | instskip(NEXT) | instid1(VALU_DEP_2)
	v_xor_b32_e32 v17, -1, v15
	v_xor_b32_e32 v16, -4, v14
	v_add_nc_u64_e32 v[14:15], s[10:11], v[14:15]
	s_delay_alu instid0(VALU_DEP_2)
	v_add_nc_u64_e32 v[16:17], v[10:11], v[16:17]
	global_load_b32 v1, v[14:15], off
	global_load_b32 v18, v[16:17], off
	s_wait_xcnt 0x1
	v_add_nc_u64_e32 v[14:15], 1, v[12:13]
	s_wait_loadcnt 0x0
	v_cmp_lt_i32_e32 vcc_lo, v18, v1
	v_dual_cndmask_b32 v9, v9, v13 :: v_dual_cndmask_b32 v8, v8, v12
	s_delay_alu instid0(VALU_DEP_3) | instskip(NEXT) | instid1(VALU_DEP_1)
	v_dual_cndmask_b32 v3, v15, v3 :: v_dual_cndmask_b32 v2, v14, v2
	v_cmp_ge_i64_e32 vcc_lo, v[2:3], v[8:9]
	s_or_b32 s13, vcc_lo, s13
	s_delay_alu instid0(SALU_CYCLE_1)
	s_and_not1_b32 exec_lo, exec_lo, s13
	s_cbranch_execnz .LBB28_6
; %bb.7:
	s_or_b32 exec_lo, exec_lo, s13
.LBB28_8:
	s_delay_alu instid0(SALU_CYCLE_1) | instskip(SKIP_3) | instid1(VALU_DEP_2)
	s_or_b32 exec_lo, exec_lo, s0
	v_sub_nc_u64_e32 v[12:13], v[4:5], v[2:3]
	v_mov_b64_e32 v[8:9], 0
	s_mov_b32 s13, exec_lo
	v_cmpx_gt_i64_e64 s[6:7], v[12:13]
	s_cbranch_execz .LBB28_38
; %bb.9:
	v_lshl_add_u64 v[10:11], v[12:13], 2, s[2:3]
	v_mov_b64_e32 v[8:9], 0
	v_mov_b64_e32 v[14:15], 0
	s_mov_b32 s0, exec_lo
	global_load_b32 v1, v[10:11], off
	s_wait_xcnt 0x0
	v_cmpx_lt_i64_e32 0, v[2:3]
	s_cbranch_execnz .LBB28_14
; %bb.10:
	s_or_b32 exec_lo, exec_lo, s0
	s_delay_alu instid0(SALU_CYCLE_1)
	s_mov_b32 s0, exec_lo
	v_cmpx_lt_u64_e64 v[8:9], v[14:15]
	s_cbranch_execnz .LBB28_15
.LBB28_11:
	s_or_b32 exec_lo, exec_lo, s0
	s_delay_alu instid0(SALU_CYCLE_1)
	s_mov_b32 s0, exec_lo
	v_cmpx_lt_u64_e64 v[8:9], v[14:15]
	s_cbranch_execnz .LBB28_16
.LBB28_12:
	s_or_b32 exec_lo, exec_lo, s0
	s_delay_alu instid0(SALU_CYCLE_1)
	s_mov_b32 s0, exec_lo
	v_cmpx_lt_u64_e64 v[8:9], v[14:15]
	s_cbranch_execnz .LBB28_17
.LBB28_13:
	s_or_b32 exec_lo, exec_lo, s0
	s_delay_alu instid0(SALU_CYCLE_1)
	s_mov_b32 s0, exec_lo
	v_cmpx_lt_u64_e64 v[8:9], v[14:15]
	s_cbranch_execnz .LBB28_18
	s_branch .LBB28_21
.LBB28_14:
	v_mul_u64_e32 v[8:9], 0x1ff, v[2:3]
	s_delay_alu instid0(VALU_DEP_1) | instskip(NEXT) | instid1(VALU_DEP_1)
	v_lshrrev_b64 v[14:15], 9, v[8:9]
	v_lshl_add_u64 v[8:9], v[14:15], 2, s[10:11]
	global_load_b32 v16, v[8:9], off
	s_wait_xcnt 0x0
	v_add_nc_u64_e32 v[8:9], 1, v[14:15]
	s_wait_loadcnt 0x0
	v_cmp_lt_i32_e32 vcc_lo, v16, v1
	s_delay_alu instid0(VALU_DEP_2) | instskip(SKIP_2) | instid1(SALU_CYCLE_1)
	v_dual_cndmask_b32 v9, 0, v9 :: v_dual_cndmask_b32 v8, 0, v8
	v_dual_cndmask_b32 v15, v15, v3 :: v_dual_cndmask_b32 v14, v14, v2
	s_or_b32 exec_lo, exec_lo, s0
	s_mov_b32 s0, exec_lo
	s_delay_alu instid0(VALU_DEP_1)
	v_cmpx_lt_u64_e64 v[8:9], v[14:15]
	s_cbranch_execz .LBB28_11
.LBB28_15:
	v_mad_nc_u64_u32 v[16:17], 0x7f, v14, v[8:9]
	s_delay_alu instid0(VALU_DEP_1) | instskip(NEXT) | instid1(VALU_DEP_1)
	v_mad_u32 v17, 0x7f, v15, v17
	v_lshrrev_b64 v[16:17], 7, v[16:17]
	s_delay_alu instid0(VALU_DEP_1)
	v_lshl_add_u64 v[18:19], v[16:17], 2, s[10:11]
	global_load_b32 v20, v[18:19], off
	s_wait_xcnt 0x0
	v_add_nc_u64_e32 v[18:19], 1, v[16:17]
	s_wait_loadcnt 0x0
	v_cmp_lt_i32_e32 vcc_lo, v20, v1
	s_delay_alu instid0(VALU_DEP_2) | instskip(SKIP_2) | instid1(SALU_CYCLE_1)
	v_dual_cndmask_b32 v9, v9, v19 :: v_dual_cndmask_b32 v8, v8, v18
	v_dual_cndmask_b32 v15, v17, v15 :: v_dual_cndmask_b32 v14, v16, v14
	s_or_b32 exec_lo, exec_lo, s0
	s_mov_b32 s0, exec_lo
	s_delay_alu instid0(VALU_DEP_1)
	v_cmpx_lt_u64_e64 v[8:9], v[14:15]
	s_cbranch_execz .LBB28_12
.LBB28_16:
	v_mad_nc_u64_u32 v[16:17], v14, 31, v[8:9]
	s_delay_alu instid0(VALU_DEP_1) | instskip(NEXT) | instid1(VALU_DEP_1)
	v_mad_u32 v17, v15, 31, v17
	v_lshrrev_b64 v[16:17], 5, v[16:17]
	s_delay_alu instid0(VALU_DEP_1)
	v_lshl_add_u64 v[18:19], v[16:17], 2, s[10:11]
	global_load_b32 v20, v[18:19], off
	s_wait_xcnt 0x0
	v_add_nc_u64_e32 v[18:19], 1, v[16:17]
	s_wait_loadcnt 0x0
	v_cmp_lt_i32_e32 vcc_lo, v20, v1
	s_delay_alu instid0(VALU_DEP_2) | instskip(SKIP_2) | instid1(SALU_CYCLE_1)
	v_dual_cndmask_b32 v9, v9, v19 :: v_dual_cndmask_b32 v8, v8, v18
	v_dual_cndmask_b32 v15, v17, v15 :: v_dual_cndmask_b32 v14, v16, v14
	s_or_b32 exec_lo, exec_lo, s0
	s_mov_b32 s0, exec_lo
	s_delay_alu instid0(VALU_DEP_1)
	v_cmpx_lt_u64_e64 v[8:9], v[14:15]
	s_cbranch_execz .LBB28_13
.LBB28_17:
	v_mad_nc_u64_u32 v[16:17], v14, 15, v[8:9]
	s_delay_alu instid0(VALU_DEP_1) | instskip(NEXT) | instid1(VALU_DEP_1)
	v_mad_u32 v17, v15, 15, v17
	v_lshrrev_b64 v[16:17], 4, v[16:17]
	s_delay_alu instid0(VALU_DEP_1)
	v_lshl_add_u64 v[18:19], v[16:17], 2, s[10:11]
	global_load_b32 v20, v[18:19], off
	s_wait_xcnt 0x0
	v_add_nc_u64_e32 v[18:19], 1, v[16:17]
	s_wait_loadcnt 0x0
	v_cmp_lt_i32_e32 vcc_lo, v20, v1
	s_delay_alu instid0(VALU_DEP_2) | instskip(SKIP_2) | instid1(SALU_CYCLE_1)
	v_dual_cndmask_b32 v9, v9, v19 :: v_dual_cndmask_b32 v8, v8, v18
	v_dual_cndmask_b32 v15, v17, v15 :: v_dual_cndmask_b32 v14, v16, v14
	s_or_b32 exec_lo, exec_lo, s0
	s_mov_b32 s0, exec_lo
	s_delay_alu instid0(VALU_DEP_1)
	v_cmpx_lt_u64_e64 v[8:9], v[14:15]
	s_cbranch_execz .LBB28_21
.LBB28_18:
	s_mov_b32 s14, 0
.LBB28_19:                              ; =>This Inner Loop Header: Depth=1
	v_add_nc_u64_e32 v[16:17], v[8:9], v[14:15]
	s_delay_alu instid0(VALU_DEP_1) | instskip(NEXT) | instid1(VALU_DEP_1)
	v_lshrrev_b64 v[16:17], 1, v[16:17]
	v_lshl_add_u64 v[18:19], v[16:17], 2, s[10:11]
	global_load_b32 v20, v[18:19], off
	s_wait_xcnt 0x0
	v_add_nc_u64_e32 v[18:19], 1, v[16:17]
	s_wait_loadcnt 0x0
	v_cmp_lt_i32_e32 vcc_lo, v20, v1
	s_delay_alu instid0(VALU_DEP_2) | instskip(SKIP_1) | instid1(VALU_DEP_1)
	v_dual_cndmask_b32 v9, v9, v19 :: v_dual_cndmask_b32 v8, v8, v18
	v_dual_cndmask_b32 v15, v17, v15 :: v_dual_cndmask_b32 v14, v16, v14
	v_cmp_ge_i64_e32 vcc_lo, v[8:9], v[14:15]
	s_or_b32 s14, vcc_lo, s14
	s_delay_alu instid0(SALU_CYCLE_1)
	s_and_not1_b32 exec_lo, exec_lo, s14
	s_cbranch_execnz .LBB28_19
; %bb.20:
	s_or_b32 exec_lo, exec_lo, s14
.LBB28_21:
	s_delay_alu instid0(SALU_CYCLE_1)
	s_or_b32 exec_lo, exec_lo, s0
	v_mov_b64_e32 v[14:15], 0
	v_mov_b64_e32 v[16:17], v[12:13]
	s_mov_b32 s0, exec_lo
	v_cmpx_lt_i64_e32 0, v[12:13]
	s_cbranch_execnz .LBB28_26
; %bb.22:
	s_or_b32 exec_lo, exec_lo, s0
	s_delay_alu instid0(SALU_CYCLE_1) | instskip(NEXT) | instid1(VALU_DEP_2)
	s_mov_b32 s0, exec_lo
	v_cmpx_lt_i64_e64 v[14:15], v[16:17]
	s_cbranch_execnz .LBB28_27
.LBB28_23:
	s_or_b32 exec_lo, exec_lo, s0
	s_delay_alu instid0(SALU_CYCLE_1)
	s_mov_b32 s0, exec_lo
	v_cmpx_lt_i64_e64 v[14:15], v[16:17]
	s_cbranch_execnz .LBB28_28
.LBB28_24:
	s_or_b32 exec_lo, exec_lo, s0
	s_delay_alu instid0(SALU_CYCLE_1)
	s_mov_b32 s0, exec_lo
	v_cmpx_lt_i64_e64 v[14:15], v[16:17]
	s_cbranch_execnz .LBB28_29
.LBB28_25:
	s_or_b32 exec_lo, exec_lo, s0
	s_delay_alu instid0(SALU_CYCLE_1)
	s_mov_b32 s0, exec_lo
	v_cmpx_lt_i64_e64 v[14:15], v[16:17]
	s_cbranch_execnz .LBB28_30
	s_branch .LBB28_33
.LBB28_26:
	v_mul_u64_e32 v[14:15], 0x1ff, v[12:13]
	s_delay_alu instid0(VALU_DEP_1) | instskip(NEXT) | instid1(VALU_DEP_1)
	v_lshrrev_b64 v[16:17], 9, v[14:15]
	v_lshl_add_u64 v[14:15], v[16:17], 2, s[2:3]
	global_load_b32 v18, v[14:15], off
	s_wait_xcnt 0x0
	v_add_nc_u64_e32 v[14:15], 1, v[16:17]
	s_wait_loadcnt 0x0
	v_cmp_lt_i32_e32 vcc_lo, v18, v1
	s_delay_alu instid0(VALU_DEP_2) | instskip(SKIP_2) | instid1(SALU_CYCLE_1)
	v_dual_cndmask_b32 v15, 0, v15 :: v_dual_cndmask_b32 v14, 0, v14
	v_dual_cndmask_b32 v17, v17, v13 :: v_dual_cndmask_b32 v16, v16, v12
	s_or_b32 exec_lo, exec_lo, s0
	s_mov_b32 s0, exec_lo
	s_delay_alu instid0(VALU_DEP_1)
	v_cmpx_lt_i64_e64 v[14:15], v[16:17]
	s_cbranch_execz .LBB28_23
.LBB28_27:
	v_mad_nc_u64_u32 v[18:19], 0x7f, v16, v[14:15]
	s_delay_alu instid0(VALU_DEP_1) | instskip(NEXT) | instid1(VALU_DEP_1)
	v_mad_u32 v19, 0x7f, v17, v19
	v_lshrrev_b64 v[18:19], 7, v[18:19]
	s_delay_alu instid0(VALU_DEP_1)
	v_lshl_add_u64 v[20:21], v[18:19], 2, s[2:3]
	global_load_b32 v22, v[20:21], off
	s_wait_xcnt 0x0
	v_add_nc_u64_e32 v[20:21], 1, v[18:19]
	s_wait_loadcnt 0x0
	v_cmp_lt_i32_e32 vcc_lo, v22, v1
	s_delay_alu instid0(VALU_DEP_2) | instskip(SKIP_2) | instid1(SALU_CYCLE_1)
	v_dual_cndmask_b32 v15, v15, v21 :: v_dual_cndmask_b32 v14, v14, v20
	v_dual_cndmask_b32 v17, v19, v17 :: v_dual_cndmask_b32 v16, v18, v16
	s_or_b32 exec_lo, exec_lo, s0
	s_mov_b32 s0, exec_lo
	s_delay_alu instid0(VALU_DEP_1)
	v_cmpx_lt_i64_e64 v[14:15], v[16:17]
	s_cbranch_execz .LBB28_24
.LBB28_28:
	v_mad_nc_u64_u32 v[18:19], v16, 31, v[14:15]
	s_delay_alu instid0(VALU_DEP_1) | instskip(NEXT) | instid1(VALU_DEP_1)
	v_mad_u32 v19, v17, 31, v19
	v_lshrrev_b64 v[18:19], 5, v[18:19]
	s_delay_alu instid0(VALU_DEP_1)
	v_lshl_add_u64 v[20:21], v[18:19], 2, s[2:3]
	global_load_b32 v22, v[20:21], off
	s_wait_xcnt 0x0
	v_add_nc_u64_e32 v[20:21], 1, v[18:19]
	s_wait_loadcnt 0x0
	v_cmp_lt_i32_e32 vcc_lo, v22, v1
	s_delay_alu instid0(VALU_DEP_2) | instskip(SKIP_2) | instid1(SALU_CYCLE_1)
	v_dual_cndmask_b32 v15, v15, v21 :: v_dual_cndmask_b32 v14, v14, v20
	v_dual_cndmask_b32 v17, v19, v17 :: v_dual_cndmask_b32 v16, v18, v16
	s_or_b32 exec_lo, exec_lo, s0
	s_mov_b32 s0, exec_lo
	s_delay_alu instid0(VALU_DEP_1)
	v_cmpx_lt_i64_e64 v[14:15], v[16:17]
	s_cbranch_execz .LBB28_25
.LBB28_29:
	v_mad_nc_u64_u32 v[18:19], v16, 15, v[14:15]
	s_delay_alu instid0(VALU_DEP_1) | instskip(NEXT) | instid1(VALU_DEP_1)
	v_mad_u32 v19, v17, 15, v19
	v_lshrrev_b64 v[18:19], 4, v[18:19]
	s_delay_alu instid0(VALU_DEP_1)
	v_lshl_add_u64 v[20:21], v[18:19], 2, s[2:3]
	global_load_b32 v22, v[20:21], off
	s_wait_xcnt 0x0
	v_add_nc_u64_e32 v[20:21], 1, v[18:19]
	s_wait_loadcnt 0x0
	v_cmp_lt_i32_e32 vcc_lo, v22, v1
	s_delay_alu instid0(VALU_DEP_2) | instskip(SKIP_2) | instid1(SALU_CYCLE_1)
	v_dual_cndmask_b32 v15, v15, v21 :: v_dual_cndmask_b32 v14, v14, v20
	v_dual_cndmask_b32 v17, v19, v17 :: v_dual_cndmask_b32 v16, v18, v16
	s_or_b32 exec_lo, exec_lo, s0
	s_mov_b32 s0, exec_lo
	s_delay_alu instid0(VALU_DEP_1)
	v_cmpx_lt_i64_e64 v[14:15], v[16:17]
	s_cbranch_execz .LBB28_33
.LBB28_30:
	s_mov_b32 s14, 0
.LBB28_31:                              ; =>This Inner Loop Header: Depth=1
	v_add_nc_u64_e32 v[18:19], v[14:15], v[16:17]
	s_delay_alu instid0(VALU_DEP_1) | instskip(NEXT) | instid1(VALU_DEP_1)
	v_lshrrev_b64 v[18:19], 1, v[18:19]
	v_lshl_add_u64 v[20:21], v[18:19], 2, s[2:3]
	global_load_b32 v22, v[20:21], off
	s_wait_xcnt 0x0
	v_add_nc_u64_e32 v[20:21], 1, v[18:19]
	s_wait_loadcnt 0x0
	v_cmp_lt_i32_e32 vcc_lo, v22, v1
	s_delay_alu instid0(VALU_DEP_2) | instskip(SKIP_1) | instid1(VALU_DEP_1)
	v_dual_cndmask_b32 v15, v15, v21 :: v_dual_cndmask_b32 v14, v14, v20
	v_dual_cndmask_b32 v17, v19, v17 :: v_dual_cndmask_b32 v16, v18, v16
	v_cmp_ge_i64_e32 vcc_lo, v[14:15], v[16:17]
	s_or_b32 s14, vcc_lo, s14
	s_delay_alu instid0(SALU_CYCLE_1)
	s_and_not1_b32 exec_lo, exec_lo, s14
	s_cbranch_execnz .LBB28_31
; %bb.32:
	s_or_b32 exec_lo, exec_lo, s14
.LBB28_33:
	s_delay_alu instid0(SALU_CYCLE_1) | instskip(SKIP_3) | instid1(VALU_DEP_1)
	s_or_b32 exec_lo, exec_lo, s0
	v_sub_nc_u64_e32 v[2:3], v[2:3], v[8:9]
	v_sub_nc_u64_e32 v[18:19], v[12:13], v[14:15]
	s_mov_b32 s0, exec_lo
	v_add_nc_u64_e32 v[16:17], v[18:19], v[2:3]
	s_delay_alu instid0(VALU_DEP_1) | instskip(NEXT) | instid1(VALU_DEP_1)
	v_ashrrev_i64 v[2:3], 1, v[16:17]
	v_max_i64 v[2:3], v[2:3], v[18:19]
	s_delay_alu instid0(VALU_DEP_1) | instskip(NEXT) | instid1(VALU_DEP_1)
	v_add_nc_u64_e32 v[14:15], v[14:15], v[2:3]
	v_add_nc_u64_e32 v[14:15], 1, v[14:15]
	s_delay_alu instid0(VALU_DEP_1) | instskip(NEXT) | instid1(VALU_DEP_1)
	v_min_i64 v[14:15], v[14:15], s[6:7]
	v_sub_nc_u64_e32 v[14:15], v[14:15], v[12:13]
	v_mov_b64_e32 v[12:13], 0
	s_delay_alu instid0(VALU_DEP_2)
	v_cmpx_lt_i64_e32 0, v[14:15]
	s_cbranch_execz .LBB28_37
; %bb.34:
	v_mov_b64_e32 v[12:13], 0
	s_mov_b32 s14, 0
.LBB28_35:                              ; =>This Inner Loop Header: Depth=1
	s_delay_alu instid0(VALU_DEP_1) | instskip(NEXT) | instid1(VALU_DEP_1)
	v_add_nc_u64_e32 v[20:21], v[12:13], v[14:15]
	v_lshrrev_b64 v[20:21], 1, v[20:21]
	s_delay_alu instid0(VALU_DEP_1)
	v_lshl_add_u64 v[22:23], v[20:21], 2, v[10:11]
	global_load_b32 v24, v[22:23], off
	s_wait_xcnt 0x0
	v_add_nc_u64_e32 v[22:23], 1, v[20:21]
	s_wait_loadcnt 0x0
	v_cmp_lt_i32_e32 vcc_lo, v1, v24
	s_delay_alu instid0(VALU_DEP_2) | instskip(SKIP_1) | instid1(VALU_DEP_1)
	v_dual_cndmask_b32 v13, v23, v13 :: v_dual_cndmask_b32 v12, v22, v12
	v_dual_cndmask_b32 v15, v15, v21 :: v_dual_cndmask_b32 v14, v14, v20
	v_cmp_ge_i64_e32 vcc_lo, v[12:13], v[14:15]
	s_or_b32 s14, vcc_lo, s14
	s_delay_alu instid0(SALU_CYCLE_1)
	s_and_not1_b32 exec_lo, exec_lo, s14
	s_cbranch_execnz .LBB28_35
; %bb.36:
	s_or_b32 exec_lo, exec_lo, s14
	v_ashrrev_i32_e32 v13, 31, v12
.LBB28_37:
	s_or_b32 exec_lo, exec_lo, s0
	s_delay_alu instid0(VALU_DEP_1) | instskip(SKIP_1) | instid1(VALU_DEP_1)
	v_add_nc_u64_e32 v[10:11], v[12:13], v[18:19]
	s_mov_b32 s14, 0
	v_min_i64 v[12:13], v[10:11], v[2:3]
	v_cmp_lt_i64_e32 vcc_lo, v[2:3], v[10:11]
	s_delay_alu instid0(VALU_DEP_2) | instskip(SKIP_1) | instid1(VALU_DEP_2)
	v_sub_nc_u64_e32 v[14:15], v[16:17], v[12:13]
	v_add_nc_u64_e32 v[12:13], 1, v[12:13]
	v_add_nc_u64_e32 v[2:3], v[14:15], v[8:9]
	s_delay_alu instid0(VALU_DEP_2) | instskip(SKIP_2) | instid1(SALU_CYCLE_1)
	v_cmp_eq_u64_e64 s0, v[14:15], v[12:13]
	v_mov_b32_e32 v9, s14
	s_and_b32 s0, s0, vcc_lo
	v_cndmask_b32_e64 v8, 0, 1, s0
.LBB28_38:
	s_or_b32 exec_lo, exec_lo, s13
	s_delay_alu instid0(VALU_DEP_1) | instskip(SKIP_1) | instid1(VALU_DEP_2)
	v_add_nc_u64_e32 v[4:5], v[8:9], v[4:5]
	v_lshl_add_u64 v[6:7], v[6:7], 4, s[8:9]
	v_sub_nc_u64_e32 v[4:5], v[4:5], v[2:3]
	global_store_b128 v[6:7], v[2:5], off
.LBB28_39:
	s_wait_xcnt 0x0
	s_or_b32 exec_lo, exec_lo, s12
	s_cbranch_execnz .LBB28_2
.LBB28_40:
	v_dual_mov_b32 v5, 0 :: v_dual_add_nc_u32 v4, s1, v0
	s_add_nc_u64 s[0:1], s[6:7], s[4:5]
	s_wait_loadcnt 0x0
	s_delay_alu instid0(VALU_DEP_1) | instskip(NEXT) | instid1(VALU_DEP_1)
	v_mul_u64_e32 v[0:1], 0xfff, v[4:5]
	v_min_i64 v[2:3], s[0:1], v[0:1]
	s_mov_b32 s0, exec_lo
	s_delay_alu instid0(VALU_DEP_1) | instskip(SKIP_1) | instid1(VALU_DEP_2)
	v_sub_nc_u64_e64 v[0:1], v[2:3], s[6:7]
	v_min_i64 v[6:7], s[4:5], v[2:3]
	v_max_i64 v[0:1], v[0:1], 0
	s_delay_alu instid0(VALU_DEP_1)
	v_cmpx_lt_i64_e64 v[0:1], v[6:7]
	s_cbranch_execz .LBB28_44
; %bb.41:
	v_lshl_add_u64 v[8:9], v[2:3], 2, s[2:3]
	s_mov_b32 s1, 0
.LBB28_42:                              ; =>This Inner Loop Header: Depth=1
	v_add_nc_u64_e32 v[10:11], v[6:7], v[0:1]
	s_delay_alu instid0(VALU_DEP_1) | instskip(NEXT) | instid1(VALU_DEP_1)
	v_lshrrev_b64 v[10:11], 1, v[10:11]
	v_lshlrev_b64_e32 v[12:13], 2, v[10:11]
	s_delay_alu instid0(VALU_DEP_1) | instskip(NEXT) | instid1(VALU_DEP_2)
	v_xor_b32_e32 v15, -1, v13
	v_xor_b32_e32 v14, -4, v12
	v_add_nc_u64_e32 v[12:13], s[10:11], v[12:13]
	s_delay_alu instid0(VALU_DEP_2)
	v_add_nc_u64_e32 v[14:15], v[8:9], v[14:15]
	global_load_b32 v16, v[12:13], off
	global_load_b32 v17, v[14:15], off
	s_wait_xcnt 0x1
	v_add_nc_u64_e32 v[12:13], 1, v[10:11]
	s_wait_loadcnt 0x0
	v_cmp_lt_i32_e32 vcc_lo, v17, v16
	v_dual_cndmask_b32 v7, v7, v11 :: v_dual_cndmask_b32 v6, v6, v10
	s_delay_alu instid0(VALU_DEP_3) | instskip(NEXT) | instid1(VALU_DEP_1)
	v_dual_cndmask_b32 v1, v13, v1 :: v_dual_cndmask_b32 v0, v12, v0
	v_cmp_ge_i64_e32 vcc_lo, v[0:1], v[6:7]
	s_or_b32 s1, vcc_lo, s1
	s_wait_xcnt 0x0
	s_and_not1_b32 exec_lo, exec_lo, s1
	s_cbranch_execnz .LBB28_42
; %bb.43:
	s_or_b32 exec_lo, exec_lo, s1
.LBB28_44:
	s_delay_alu instid0(SALU_CYCLE_1) | instskip(SKIP_3) | instid1(VALU_DEP_2)
	s_or_b32 exec_lo, exec_lo, s0
	v_sub_nc_u64_e32 v[10:11], v[2:3], v[0:1]
	v_mov_b64_e32 v[6:7], 0
	s_mov_b32 s1, exec_lo
	v_cmpx_gt_i64_e64 s[6:7], v[10:11]
	s_cbranch_execz .LBB28_74
; %bb.45:
	v_lshl_add_u64 v[8:9], v[10:11], 2, s[2:3]
	v_mov_b64_e32 v[6:7], 0
	v_mov_b64_e32 v[12:13], 0
	s_mov_b32 s0, exec_lo
	global_load_b32 v18, v[8:9], off
	s_wait_xcnt 0x0
	v_cmpx_lt_i64_e32 0, v[0:1]
	s_cbranch_execnz .LBB28_50
; %bb.46:
	s_or_b32 exec_lo, exec_lo, s0
	s_delay_alu instid0(SALU_CYCLE_1)
	s_mov_b32 s0, exec_lo
	v_cmpx_lt_u64_e64 v[6:7], v[12:13]
	s_cbranch_execnz .LBB28_51
.LBB28_47:
	s_or_b32 exec_lo, exec_lo, s0
	s_delay_alu instid0(SALU_CYCLE_1)
	s_mov_b32 s0, exec_lo
	v_cmpx_lt_u64_e64 v[6:7], v[12:13]
	s_cbranch_execnz .LBB28_52
.LBB28_48:
	s_or_b32 exec_lo, exec_lo, s0
	s_delay_alu instid0(SALU_CYCLE_1)
	s_mov_b32 s0, exec_lo
	v_cmpx_lt_u64_e64 v[6:7], v[12:13]
	s_cbranch_execnz .LBB28_53
.LBB28_49:
	s_or_b32 exec_lo, exec_lo, s0
	s_delay_alu instid0(SALU_CYCLE_1)
	s_mov_b32 s0, exec_lo
	v_cmpx_lt_u64_e64 v[6:7], v[12:13]
	s_cbranch_execnz .LBB28_54
	s_branch .LBB28_57
.LBB28_50:
	v_mul_u64_e32 v[6:7], 0x1ff, v[0:1]
	s_delay_alu instid0(VALU_DEP_1) | instskip(NEXT) | instid1(VALU_DEP_1)
	v_lshrrev_b64 v[12:13], 9, v[6:7]
	v_lshl_add_u64 v[6:7], v[12:13], 2, s[10:11]
	global_load_b32 v14, v[6:7], off
	s_wait_xcnt 0x0
	v_add_nc_u64_e32 v[6:7], 1, v[12:13]
	s_wait_loadcnt 0x0
	v_cmp_lt_i32_e32 vcc_lo, v14, v18
	s_delay_alu instid0(VALU_DEP_2) | instskip(SKIP_2) | instid1(SALU_CYCLE_1)
	v_dual_cndmask_b32 v7, 0, v7 :: v_dual_cndmask_b32 v6, 0, v6
	v_dual_cndmask_b32 v13, v13, v1 :: v_dual_cndmask_b32 v12, v12, v0
	s_or_b32 exec_lo, exec_lo, s0
	s_mov_b32 s0, exec_lo
	s_delay_alu instid0(VALU_DEP_1)
	v_cmpx_lt_u64_e64 v[6:7], v[12:13]
	s_cbranch_execz .LBB28_47
.LBB28_51:
	v_mad_nc_u64_u32 v[14:15], 0x7f, v12, v[6:7]
	s_delay_alu instid0(VALU_DEP_1) | instskip(NEXT) | instid1(VALU_DEP_1)
	v_mad_u32 v15, 0x7f, v13, v15
	v_lshrrev_b64 v[14:15], 7, v[14:15]
	s_delay_alu instid0(VALU_DEP_1)
	v_lshl_add_u64 v[16:17], v[14:15], 2, s[10:11]
	global_load_b32 v19, v[16:17], off
	s_wait_xcnt 0x0
	v_add_nc_u64_e32 v[16:17], 1, v[14:15]
	s_wait_loadcnt 0x0
	v_cmp_lt_i32_e32 vcc_lo, v19, v18
	s_delay_alu instid0(VALU_DEP_2) | instskip(SKIP_2) | instid1(SALU_CYCLE_1)
	v_dual_cndmask_b32 v7, v7, v17 :: v_dual_cndmask_b32 v6, v6, v16
	v_dual_cndmask_b32 v13, v15, v13 :: v_dual_cndmask_b32 v12, v14, v12
	s_or_b32 exec_lo, exec_lo, s0
	s_mov_b32 s0, exec_lo
	s_delay_alu instid0(VALU_DEP_1)
	v_cmpx_lt_u64_e64 v[6:7], v[12:13]
	s_cbranch_execz .LBB28_48
.LBB28_52:
	v_mad_nc_u64_u32 v[14:15], v12, 31, v[6:7]
	s_delay_alu instid0(VALU_DEP_1) | instskip(NEXT) | instid1(VALU_DEP_1)
	v_mad_u32 v15, v13, 31, v15
	v_lshrrev_b64 v[14:15], 5, v[14:15]
	s_delay_alu instid0(VALU_DEP_1)
	v_lshl_add_u64 v[16:17], v[14:15], 2, s[10:11]
	global_load_b32 v19, v[16:17], off
	s_wait_xcnt 0x0
	v_add_nc_u64_e32 v[16:17], 1, v[14:15]
	s_wait_loadcnt 0x0
	v_cmp_lt_i32_e32 vcc_lo, v19, v18
	s_delay_alu instid0(VALU_DEP_2) | instskip(SKIP_2) | instid1(SALU_CYCLE_1)
	v_dual_cndmask_b32 v7, v7, v17 :: v_dual_cndmask_b32 v6, v6, v16
	v_dual_cndmask_b32 v13, v15, v13 :: v_dual_cndmask_b32 v12, v14, v12
	s_or_b32 exec_lo, exec_lo, s0
	s_mov_b32 s0, exec_lo
	s_delay_alu instid0(VALU_DEP_1)
	v_cmpx_lt_u64_e64 v[6:7], v[12:13]
	s_cbranch_execz .LBB28_49
.LBB28_53:
	v_mad_nc_u64_u32 v[14:15], v12, 15, v[6:7]
	s_delay_alu instid0(VALU_DEP_1) | instskip(NEXT) | instid1(VALU_DEP_1)
	v_mad_u32 v15, v13, 15, v15
	v_lshrrev_b64 v[14:15], 4, v[14:15]
	s_delay_alu instid0(VALU_DEP_1)
	v_lshl_add_u64 v[16:17], v[14:15], 2, s[10:11]
	global_load_b32 v19, v[16:17], off
	s_wait_xcnt 0x0
	v_add_nc_u64_e32 v[16:17], 1, v[14:15]
	s_wait_loadcnt 0x0
	v_cmp_lt_i32_e32 vcc_lo, v19, v18
	s_delay_alu instid0(VALU_DEP_2) | instskip(SKIP_2) | instid1(SALU_CYCLE_1)
	v_dual_cndmask_b32 v7, v7, v17 :: v_dual_cndmask_b32 v6, v6, v16
	v_dual_cndmask_b32 v13, v15, v13 :: v_dual_cndmask_b32 v12, v14, v12
	s_or_b32 exec_lo, exec_lo, s0
	s_mov_b32 s0, exec_lo
	s_delay_alu instid0(VALU_DEP_1)
	v_cmpx_lt_u64_e64 v[6:7], v[12:13]
	s_cbranch_execz .LBB28_57
.LBB28_54:
	s_mov_b32 s4, 0
.LBB28_55:                              ; =>This Inner Loop Header: Depth=1
	v_add_nc_u64_e32 v[14:15], v[6:7], v[12:13]
	s_delay_alu instid0(VALU_DEP_1) | instskip(NEXT) | instid1(VALU_DEP_1)
	v_lshrrev_b64 v[14:15], 1, v[14:15]
	v_lshl_add_u64 v[16:17], v[14:15], 2, s[10:11]
	global_load_b32 v19, v[16:17], off
	s_wait_xcnt 0x0
	v_add_nc_u64_e32 v[16:17], 1, v[14:15]
	s_wait_loadcnt 0x0
	v_cmp_lt_i32_e32 vcc_lo, v19, v18
	s_delay_alu instid0(VALU_DEP_2) | instskip(SKIP_1) | instid1(VALU_DEP_1)
	v_dual_cndmask_b32 v7, v7, v17 :: v_dual_cndmask_b32 v6, v6, v16
	v_dual_cndmask_b32 v13, v15, v13 :: v_dual_cndmask_b32 v12, v14, v12
	v_cmp_ge_i64_e32 vcc_lo, v[6:7], v[12:13]
	s_or_b32 s4, vcc_lo, s4
	s_delay_alu instid0(SALU_CYCLE_1)
	s_and_not1_b32 exec_lo, exec_lo, s4
	s_cbranch_execnz .LBB28_55
; %bb.56:
	s_or_b32 exec_lo, exec_lo, s4
.LBB28_57:
	s_delay_alu instid0(SALU_CYCLE_1)
	s_or_b32 exec_lo, exec_lo, s0
	v_mov_b64_e32 v[12:13], 0
	v_mov_b64_e32 v[14:15], v[10:11]
	s_mov_b32 s0, exec_lo
	v_cmpx_lt_i64_e32 0, v[10:11]
	s_cbranch_execnz .LBB28_62
; %bb.58:
	s_or_b32 exec_lo, exec_lo, s0
	s_delay_alu instid0(SALU_CYCLE_1) | instskip(NEXT) | instid1(VALU_DEP_2)
	s_mov_b32 s0, exec_lo
	v_cmpx_lt_i64_e64 v[12:13], v[14:15]
	s_cbranch_execnz .LBB28_63
.LBB28_59:
	s_or_b32 exec_lo, exec_lo, s0
	s_delay_alu instid0(SALU_CYCLE_1)
	s_mov_b32 s0, exec_lo
	v_cmpx_lt_i64_e64 v[12:13], v[14:15]
	s_cbranch_execnz .LBB28_64
.LBB28_60:
	s_or_b32 exec_lo, exec_lo, s0
	s_delay_alu instid0(SALU_CYCLE_1)
	s_mov_b32 s0, exec_lo
	v_cmpx_lt_i64_e64 v[12:13], v[14:15]
	s_cbranch_execnz .LBB28_65
.LBB28_61:
	s_or_b32 exec_lo, exec_lo, s0
	s_delay_alu instid0(SALU_CYCLE_1)
	s_mov_b32 s0, exec_lo
	v_cmpx_lt_i64_e64 v[12:13], v[14:15]
	s_cbranch_execnz .LBB28_66
	s_branch .LBB28_69
.LBB28_62:
	v_mul_u64_e32 v[12:13], 0x1ff, v[10:11]
	s_delay_alu instid0(VALU_DEP_1) | instskip(NEXT) | instid1(VALU_DEP_1)
	v_lshrrev_b64 v[14:15], 9, v[12:13]
	v_lshl_add_u64 v[12:13], v[14:15], 2, s[2:3]
	global_load_b32 v16, v[12:13], off
	s_wait_xcnt 0x0
	v_add_nc_u64_e32 v[12:13], 1, v[14:15]
	s_wait_loadcnt 0x0
	v_cmp_lt_i32_e32 vcc_lo, v16, v18
	s_delay_alu instid0(VALU_DEP_2) | instskip(SKIP_2) | instid1(SALU_CYCLE_1)
	v_dual_cndmask_b32 v13, 0, v13 :: v_dual_cndmask_b32 v12, 0, v12
	v_dual_cndmask_b32 v15, v15, v11 :: v_dual_cndmask_b32 v14, v14, v10
	s_or_b32 exec_lo, exec_lo, s0
	s_mov_b32 s0, exec_lo
	s_delay_alu instid0(VALU_DEP_1)
	v_cmpx_lt_i64_e64 v[12:13], v[14:15]
	s_cbranch_execz .LBB28_59
.LBB28_63:
	v_mad_nc_u64_u32 v[16:17], 0x7f, v14, v[12:13]
	s_delay_alu instid0(VALU_DEP_1) | instskip(NEXT) | instid1(VALU_DEP_1)
	v_mad_u32 v17, 0x7f, v15, v17
	v_lshrrev_b64 v[16:17], 7, v[16:17]
	s_delay_alu instid0(VALU_DEP_1)
	v_lshl_add_u64 v[20:21], v[16:17], 2, s[2:3]
	global_load_b32 v19, v[20:21], off
	s_wait_xcnt 0x0
	v_add_nc_u64_e32 v[20:21], 1, v[16:17]
	s_wait_loadcnt 0x0
	v_cmp_lt_i32_e32 vcc_lo, v19, v18
	s_delay_alu instid0(VALU_DEP_2) | instskip(SKIP_2) | instid1(SALU_CYCLE_1)
	v_dual_cndmask_b32 v13, v13, v21 :: v_dual_cndmask_b32 v12, v12, v20
	v_dual_cndmask_b32 v15, v17, v15 :: v_dual_cndmask_b32 v14, v16, v14
	s_or_b32 exec_lo, exec_lo, s0
	s_mov_b32 s0, exec_lo
	s_delay_alu instid0(VALU_DEP_1)
	v_cmpx_lt_i64_e64 v[12:13], v[14:15]
	s_cbranch_execz .LBB28_60
.LBB28_64:
	v_mad_nc_u64_u32 v[16:17], v14, 31, v[12:13]
	s_delay_alu instid0(VALU_DEP_1) | instskip(NEXT) | instid1(VALU_DEP_1)
	v_mad_u32 v17, v15, 31, v17
	v_lshrrev_b64 v[16:17], 5, v[16:17]
	s_delay_alu instid0(VALU_DEP_1)
	v_lshl_add_u64 v[20:21], v[16:17], 2, s[2:3]
	global_load_b32 v19, v[20:21], off
	s_wait_xcnt 0x0
	v_add_nc_u64_e32 v[20:21], 1, v[16:17]
	s_wait_loadcnt 0x0
	v_cmp_lt_i32_e32 vcc_lo, v19, v18
	s_delay_alu instid0(VALU_DEP_2) | instskip(SKIP_2) | instid1(SALU_CYCLE_1)
	v_dual_cndmask_b32 v13, v13, v21 :: v_dual_cndmask_b32 v12, v12, v20
	v_dual_cndmask_b32 v15, v17, v15 :: v_dual_cndmask_b32 v14, v16, v14
	s_or_b32 exec_lo, exec_lo, s0
	s_mov_b32 s0, exec_lo
	s_delay_alu instid0(VALU_DEP_1)
	v_cmpx_lt_i64_e64 v[12:13], v[14:15]
	s_cbranch_execz .LBB28_61
.LBB28_65:
	v_mad_nc_u64_u32 v[16:17], v14, 15, v[12:13]
	s_delay_alu instid0(VALU_DEP_1) | instskip(NEXT) | instid1(VALU_DEP_1)
	v_mad_u32 v17, v15, 15, v17
	v_lshrrev_b64 v[16:17], 4, v[16:17]
	s_delay_alu instid0(VALU_DEP_1)
	v_lshl_add_u64 v[20:21], v[16:17], 2, s[2:3]
	global_load_b32 v19, v[20:21], off
	s_wait_xcnt 0x0
	v_add_nc_u64_e32 v[20:21], 1, v[16:17]
	s_wait_loadcnt 0x0
	v_cmp_lt_i32_e32 vcc_lo, v19, v18
	s_delay_alu instid0(VALU_DEP_2) | instskip(SKIP_2) | instid1(SALU_CYCLE_1)
	v_dual_cndmask_b32 v13, v13, v21 :: v_dual_cndmask_b32 v12, v12, v20
	v_dual_cndmask_b32 v15, v17, v15 :: v_dual_cndmask_b32 v14, v16, v14
	s_or_b32 exec_lo, exec_lo, s0
	s_mov_b32 s0, exec_lo
	s_delay_alu instid0(VALU_DEP_1)
	v_cmpx_lt_i64_e64 v[12:13], v[14:15]
	s_cbranch_execz .LBB28_69
.LBB28_66:
	s_mov_b32 s4, 0
.LBB28_67:                              ; =>This Inner Loop Header: Depth=1
	v_add_nc_u64_e32 v[16:17], v[12:13], v[14:15]
	s_delay_alu instid0(VALU_DEP_1) | instskip(NEXT) | instid1(VALU_DEP_1)
	v_lshrrev_b64 v[16:17], 1, v[16:17]
	v_lshl_add_u64 v[20:21], v[16:17], 2, s[2:3]
	global_load_b32 v19, v[20:21], off
	s_wait_xcnt 0x0
	v_add_nc_u64_e32 v[20:21], 1, v[16:17]
	s_wait_loadcnt 0x0
	v_cmp_lt_i32_e32 vcc_lo, v19, v18
	s_delay_alu instid0(VALU_DEP_2) | instskip(SKIP_1) | instid1(VALU_DEP_1)
	v_dual_cndmask_b32 v13, v13, v21 :: v_dual_cndmask_b32 v12, v12, v20
	v_dual_cndmask_b32 v15, v17, v15 :: v_dual_cndmask_b32 v14, v16, v14
	v_cmp_ge_i64_e32 vcc_lo, v[12:13], v[14:15]
	s_or_b32 s4, vcc_lo, s4
	s_delay_alu instid0(SALU_CYCLE_1)
	s_and_not1_b32 exec_lo, exec_lo, s4
	s_cbranch_execnz .LBB28_67
; %bb.68:
	s_or_b32 exec_lo, exec_lo, s4
.LBB28_69:
	s_delay_alu instid0(SALU_CYCLE_1) | instskip(SKIP_3) | instid1(VALU_DEP_1)
	s_or_b32 exec_lo, exec_lo, s0
	v_sub_nc_u64_e32 v[0:1], v[0:1], v[6:7]
	v_sub_nc_u64_e32 v[16:17], v[10:11], v[12:13]
	s_mov_b32 s0, exec_lo
	v_add_nc_u64_e32 v[14:15], v[16:17], v[0:1]
	s_delay_alu instid0(VALU_DEP_1) | instskip(NEXT) | instid1(VALU_DEP_1)
	v_ashrrev_i64 v[0:1], 1, v[14:15]
	v_max_i64 v[0:1], v[0:1], v[16:17]
	s_delay_alu instid0(VALU_DEP_1) | instskip(NEXT) | instid1(VALU_DEP_1)
	v_add_nc_u64_e32 v[12:13], v[12:13], v[0:1]
	v_add_nc_u64_e32 v[12:13], 1, v[12:13]
	s_delay_alu instid0(VALU_DEP_1) | instskip(NEXT) | instid1(VALU_DEP_1)
	v_min_i64 v[12:13], v[12:13], s[6:7]
	v_sub_nc_u64_e32 v[12:13], v[12:13], v[10:11]
	v_mov_b64_e32 v[10:11], 0
	s_delay_alu instid0(VALU_DEP_2)
	v_cmpx_lt_i64_e32 0, v[12:13]
	s_cbranch_execz .LBB28_73
; %bb.70:
	v_mov_b64_e32 v[10:11], 0
	s_mov_b32 s2, 0
.LBB28_71:                              ; =>This Inner Loop Header: Depth=1
	s_delay_alu instid0(VALU_DEP_1) | instskip(NEXT) | instid1(VALU_DEP_1)
	v_add_nc_u64_e32 v[20:21], v[10:11], v[12:13]
	v_lshrrev_b64 v[20:21], 1, v[20:21]
	s_delay_alu instid0(VALU_DEP_1)
	v_lshl_add_u64 v[22:23], v[20:21], 2, v[8:9]
	global_load_b32 v19, v[22:23], off
	s_wait_xcnt 0x0
	v_add_nc_u64_e32 v[22:23], 1, v[20:21]
	s_wait_loadcnt 0x0
	v_cmp_lt_i32_e32 vcc_lo, v18, v19
	s_delay_alu instid0(VALU_DEP_2) | instskip(SKIP_1) | instid1(VALU_DEP_1)
	v_dual_cndmask_b32 v11, v23, v11 :: v_dual_cndmask_b32 v10, v22, v10
	v_dual_cndmask_b32 v13, v13, v21 :: v_dual_cndmask_b32 v12, v12, v20
	v_cmp_ge_i64_e32 vcc_lo, v[10:11], v[12:13]
	s_or_b32 s2, vcc_lo, s2
	s_delay_alu instid0(SALU_CYCLE_1)
	s_and_not1_b32 exec_lo, exec_lo, s2
	s_cbranch_execnz .LBB28_71
; %bb.72:
	s_or_b32 exec_lo, exec_lo, s2
	v_ashrrev_i32_e32 v11, 31, v10
.LBB28_73:
	s_or_b32 exec_lo, exec_lo, s0
	s_delay_alu instid0(VALU_DEP_1) | instskip(SKIP_1) | instid1(VALU_DEP_1)
	v_add_nc_u64_e32 v[8:9], v[10:11], v[16:17]
	s_mov_b32 s2, 0
	v_min_i64 v[10:11], v[8:9], v[0:1]
	v_cmp_lt_i64_e32 vcc_lo, v[0:1], v[8:9]
	s_delay_alu instid0(VALU_DEP_2) | instskip(SKIP_1) | instid1(VALU_DEP_2)
	v_sub_nc_u64_e32 v[12:13], v[14:15], v[10:11]
	v_add_nc_u64_e32 v[10:11], 1, v[10:11]
	v_add_nc_u64_e32 v[0:1], v[12:13], v[6:7]
	s_delay_alu instid0(VALU_DEP_2) | instskip(SKIP_2) | instid1(SALU_CYCLE_1)
	v_cmp_eq_u64_e64 s0, v[12:13], v[10:11]
	v_mov_b32_e32 v7, s2
	s_and_b32 s0, s0, vcc_lo
	v_cndmask_b32_e64 v6, 0, 1, s0
.LBB28_74:
	s_or_b32 exec_lo, exec_lo, s1
	s_delay_alu instid0(VALU_DEP_1) | instskip(SKIP_1) | instid1(VALU_DEP_2)
	v_add_nc_u64_e32 v[2:3], v[6:7], v[2:3]
	v_lshl_add_u64 v[4:5], v[4:5], 4, s[8:9]
	v_sub_nc_u64_e32 v[2:3], v[2:3], v[0:1]
	global_store_b128 v[4:5], v[0:3], off
	s_endpgm
	.section	.rodata,"a",@progbits
	.p2align	6, 0x0
	.amdhsa_kernel _ZN6thrust23THRUST_200600_302600_NS11hip_rocprim14__parallel_for6kernelILj256EZNS1_16__set_operations9doit_stepILb0ENS0_6detail15normal_iteratorINS0_10device_ptrIKiEEEESB_PiSC_lNS0_16discard_iteratorINS0_11use_defaultEEESC_NS0_4lessIiEENS4_23serial_set_intersectionEEE10hipError_tPvRmT0_T1_T2_T3_T4_SQ_T5_T6_PSQ_T7_T8_P12ihipStream_tbEUllE_jLj1EEEvSM_SN_SN_
		.amdhsa_group_segment_fixed_size 0
		.amdhsa_private_segment_fixed_size 0
		.amdhsa_kernarg_size 56
		.amdhsa_user_sgpr_count 2
		.amdhsa_user_sgpr_dispatch_ptr 0
		.amdhsa_user_sgpr_queue_ptr 0
		.amdhsa_user_sgpr_kernarg_segment_ptr 1
		.amdhsa_user_sgpr_dispatch_id 0
		.amdhsa_user_sgpr_kernarg_preload_length 0
		.amdhsa_user_sgpr_kernarg_preload_offset 0
		.amdhsa_user_sgpr_private_segment_size 0
		.amdhsa_wavefront_size32 1
		.amdhsa_uses_dynamic_stack 0
		.amdhsa_enable_private_segment 0
		.amdhsa_system_sgpr_workgroup_id_x 1
		.amdhsa_system_sgpr_workgroup_id_y 0
		.amdhsa_system_sgpr_workgroup_id_z 0
		.amdhsa_system_sgpr_workgroup_info 0
		.amdhsa_system_vgpr_workitem_id 0
		.amdhsa_next_free_vgpr 25
		.amdhsa_next_free_sgpr 16
		.amdhsa_named_barrier_count 0
		.amdhsa_reserve_vcc 1
		.amdhsa_float_round_mode_32 0
		.amdhsa_float_round_mode_16_64 0
		.amdhsa_float_denorm_mode_32 3
		.amdhsa_float_denorm_mode_16_64 3
		.amdhsa_fp16_overflow 0
		.amdhsa_memory_ordered 1
		.amdhsa_forward_progress 1
		.amdhsa_inst_pref_size 32
		.amdhsa_round_robin_scheduling 0
		.amdhsa_exception_fp_ieee_invalid_op 0
		.amdhsa_exception_fp_denorm_src 0
		.amdhsa_exception_fp_ieee_div_zero 0
		.amdhsa_exception_fp_ieee_overflow 0
		.amdhsa_exception_fp_ieee_underflow 0
		.amdhsa_exception_fp_ieee_inexact 0
		.amdhsa_exception_int_div_zero 0
	.end_amdhsa_kernel
	.section	.text._ZN6thrust23THRUST_200600_302600_NS11hip_rocprim14__parallel_for6kernelILj256EZNS1_16__set_operations9doit_stepILb0ENS0_6detail15normal_iteratorINS0_10device_ptrIKiEEEESB_PiSC_lNS0_16discard_iteratorINS0_11use_defaultEEESC_NS0_4lessIiEENS4_23serial_set_intersectionEEE10hipError_tPvRmT0_T1_T2_T3_T4_SQ_T5_T6_PSQ_T7_T8_P12ihipStream_tbEUllE_jLj1EEEvSM_SN_SN_,"axG",@progbits,_ZN6thrust23THRUST_200600_302600_NS11hip_rocprim14__parallel_for6kernelILj256EZNS1_16__set_operations9doit_stepILb0ENS0_6detail15normal_iteratorINS0_10device_ptrIKiEEEESB_PiSC_lNS0_16discard_iteratorINS0_11use_defaultEEESC_NS0_4lessIiEENS4_23serial_set_intersectionEEE10hipError_tPvRmT0_T1_T2_T3_T4_SQ_T5_T6_PSQ_T7_T8_P12ihipStream_tbEUllE_jLj1EEEvSM_SN_SN_,comdat
.Lfunc_end28:
	.size	_ZN6thrust23THRUST_200600_302600_NS11hip_rocprim14__parallel_for6kernelILj256EZNS1_16__set_operations9doit_stepILb0ENS0_6detail15normal_iteratorINS0_10device_ptrIKiEEEESB_PiSC_lNS0_16discard_iteratorINS0_11use_defaultEEESC_NS0_4lessIiEENS4_23serial_set_intersectionEEE10hipError_tPvRmT0_T1_T2_T3_T4_SQ_T5_T6_PSQ_T7_T8_P12ihipStream_tbEUllE_jLj1EEEvSM_SN_SN_, .Lfunc_end28-_ZN6thrust23THRUST_200600_302600_NS11hip_rocprim14__parallel_for6kernelILj256EZNS1_16__set_operations9doit_stepILb0ENS0_6detail15normal_iteratorINS0_10device_ptrIKiEEEESB_PiSC_lNS0_16discard_iteratorINS0_11use_defaultEEESC_NS0_4lessIiEENS4_23serial_set_intersectionEEE10hipError_tPvRmT0_T1_T2_T3_T4_SQ_T5_T6_PSQ_T7_T8_P12ihipStream_tbEUllE_jLj1EEEvSM_SN_SN_
                                        ; -- End function
	.set _ZN6thrust23THRUST_200600_302600_NS11hip_rocprim14__parallel_for6kernelILj256EZNS1_16__set_operations9doit_stepILb0ENS0_6detail15normal_iteratorINS0_10device_ptrIKiEEEESB_PiSC_lNS0_16discard_iteratorINS0_11use_defaultEEESC_NS0_4lessIiEENS4_23serial_set_intersectionEEE10hipError_tPvRmT0_T1_T2_T3_T4_SQ_T5_T6_PSQ_T7_T8_P12ihipStream_tbEUllE_jLj1EEEvSM_SN_SN_.num_vgpr, 25
	.set _ZN6thrust23THRUST_200600_302600_NS11hip_rocprim14__parallel_for6kernelILj256EZNS1_16__set_operations9doit_stepILb0ENS0_6detail15normal_iteratorINS0_10device_ptrIKiEEEESB_PiSC_lNS0_16discard_iteratorINS0_11use_defaultEEESC_NS0_4lessIiEENS4_23serial_set_intersectionEEE10hipError_tPvRmT0_T1_T2_T3_T4_SQ_T5_T6_PSQ_T7_T8_P12ihipStream_tbEUllE_jLj1EEEvSM_SN_SN_.num_agpr, 0
	.set _ZN6thrust23THRUST_200600_302600_NS11hip_rocprim14__parallel_for6kernelILj256EZNS1_16__set_operations9doit_stepILb0ENS0_6detail15normal_iteratorINS0_10device_ptrIKiEEEESB_PiSC_lNS0_16discard_iteratorINS0_11use_defaultEEESC_NS0_4lessIiEENS4_23serial_set_intersectionEEE10hipError_tPvRmT0_T1_T2_T3_T4_SQ_T5_T6_PSQ_T7_T8_P12ihipStream_tbEUllE_jLj1EEEvSM_SN_SN_.numbered_sgpr, 16
	.set _ZN6thrust23THRUST_200600_302600_NS11hip_rocprim14__parallel_for6kernelILj256EZNS1_16__set_operations9doit_stepILb0ENS0_6detail15normal_iteratorINS0_10device_ptrIKiEEEESB_PiSC_lNS0_16discard_iteratorINS0_11use_defaultEEESC_NS0_4lessIiEENS4_23serial_set_intersectionEEE10hipError_tPvRmT0_T1_T2_T3_T4_SQ_T5_T6_PSQ_T7_T8_P12ihipStream_tbEUllE_jLj1EEEvSM_SN_SN_.num_named_barrier, 0
	.set _ZN6thrust23THRUST_200600_302600_NS11hip_rocprim14__parallel_for6kernelILj256EZNS1_16__set_operations9doit_stepILb0ENS0_6detail15normal_iteratorINS0_10device_ptrIKiEEEESB_PiSC_lNS0_16discard_iteratorINS0_11use_defaultEEESC_NS0_4lessIiEENS4_23serial_set_intersectionEEE10hipError_tPvRmT0_T1_T2_T3_T4_SQ_T5_T6_PSQ_T7_T8_P12ihipStream_tbEUllE_jLj1EEEvSM_SN_SN_.private_seg_size, 0
	.set _ZN6thrust23THRUST_200600_302600_NS11hip_rocprim14__parallel_for6kernelILj256EZNS1_16__set_operations9doit_stepILb0ENS0_6detail15normal_iteratorINS0_10device_ptrIKiEEEESB_PiSC_lNS0_16discard_iteratorINS0_11use_defaultEEESC_NS0_4lessIiEENS4_23serial_set_intersectionEEE10hipError_tPvRmT0_T1_T2_T3_T4_SQ_T5_T6_PSQ_T7_T8_P12ihipStream_tbEUllE_jLj1EEEvSM_SN_SN_.uses_vcc, 1
	.set _ZN6thrust23THRUST_200600_302600_NS11hip_rocprim14__parallel_for6kernelILj256EZNS1_16__set_operations9doit_stepILb0ENS0_6detail15normal_iteratorINS0_10device_ptrIKiEEEESB_PiSC_lNS0_16discard_iteratorINS0_11use_defaultEEESC_NS0_4lessIiEENS4_23serial_set_intersectionEEE10hipError_tPvRmT0_T1_T2_T3_T4_SQ_T5_T6_PSQ_T7_T8_P12ihipStream_tbEUllE_jLj1EEEvSM_SN_SN_.uses_flat_scratch, 0
	.set _ZN6thrust23THRUST_200600_302600_NS11hip_rocprim14__parallel_for6kernelILj256EZNS1_16__set_operations9doit_stepILb0ENS0_6detail15normal_iteratorINS0_10device_ptrIKiEEEESB_PiSC_lNS0_16discard_iteratorINS0_11use_defaultEEESC_NS0_4lessIiEENS4_23serial_set_intersectionEEE10hipError_tPvRmT0_T1_T2_T3_T4_SQ_T5_T6_PSQ_T7_T8_P12ihipStream_tbEUllE_jLj1EEEvSM_SN_SN_.has_dyn_sized_stack, 0
	.set _ZN6thrust23THRUST_200600_302600_NS11hip_rocprim14__parallel_for6kernelILj256EZNS1_16__set_operations9doit_stepILb0ENS0_6detail15normal_iteratorINS0_10device_ptrIKiEEEESB_PiSC_lNS0_16discard_iteratorINS0_11use_defaultEEESC_NS0_4lessIiEENS4_23serial_set_intersectionEEE10hipError_tPvRmT0_T1_T2_T3_T4_SQ_T5_T6_PSQ_T7_T8_P12ihipStream_tbEUllE_jLj1EEEvSM_SN_SN_.has_recursion, 0
	.set _ZN6thrust23THRUST_200600_302600_NS11hip_rocprim14__parallel_for6kernelILj256EZNS1_16__set_operations9doit_stepILb0ENS0_6detail15normal_iteratorINS0_10device_ptrIKiEEEESB_PiSC_lNS0_16discard_iteratorINS0_11use_defaultEEESC_NS0_4lessIiEENS4_23serial_set_intersectionEEE10hipError_tPvRmT0_T1_T2_T3_T4_SQ_T5_T6_PSQ_T7_T8_P12ihipStream_tbEUllE_jLj1EEEvSM_SN_SN_.has_indirect_call, 0
	.section	.AMDGPU.csdata,"",@progbits
; Kernel info:
; codeLenInByte = 3992
; TotalNumSgprs: 18
; NumVgprs: 25
; ScratchSize: 0
; MemoryBound: 0
; FloatMode: 240
; IeeeMode: 1
; LDSByteSize: 0 bytes/workgroup (compile time only)
; SGPRBlocks: 0
; VGPRBlocks: 1
; NumSGPRsForWavesPerEU: 18
; NumVGPRsForWavesPerEU: 25
; NamedBarCnt: 0
; Occupancy: 16
; WaveLimiterHint : 0
; COMPUTE_PGM_RSRC2:SCRATCH_EN: 0
; COMPUTE_PGM_RSRC2:USER_SGPR: 2
; COMPUTE_PGM_RSRC2:TRAP_HANDLER: 0
; COMPUTE_PGM_RSRC2:TGID_X_EN: 1
; COMPUTE_PGM_RSRC2:TGID_Y_EN: 0
; COMPUTE_PGM_RSRC2:TGID_Z_EN: 0
; COMPUTE_PGM_RSRC2:TIDIG_COMP_CNT: 0
	.section	.text._ZN6thrust23THRUST_200600_302600_NS11hip_rocprim16__set_operations22lookback_set_op_kernelIN7rocprim17ROCPRIM_400000_NS13kernel_configILj256ELj16ELj4294967295EEELb0ENS0_6detail15normal_iteratorINS0_10device_ptrIKiEEEESD_PiSE_lNS0_16discard_iteratorINS0_11use_defaultEEESE_NS0_4lessIiEENS2_23serial_set_intersectionENS5_6detail19lookback_scan_stateIlLb0ELb1EEEEEvT1_T2_T3_T4_T6_T7_T8_T9_PNS0_4pairIT5_SX_EEPSX_T10_NSL_16ordered_block_idIjEE,"axG",@progbits,_ZN6thrust23THRUST_200600_302600_NS11hip_rocprim16__set_operations22lookback_set_op_kernelIN7rocprim17ROCPRIM_400000_NS13kernel_configILj256ELj16ELj4294967295EEELb0ENS0_6detail15normal_iteratorINS0_10device_ptrIKiEEEESD_PiSE_lNS0_16discard_iteratorINS0_11use_defaultEEESE_NS0_4lessIiEENS2_23serial_set_intersectionENS5_6detail19lookback_scan_stateIlLb0ELb1EEEEEvT1_T2_T3_T4_T6_T7_T8_T9_PNS0_4pairIT5_SX_EEPSX_T10_NSL_16ordered_block_idIjEE,comdat
	.protected	_ZN6thrust23THRUST_200600_302600_NS11hip_rocprim16__set_operations22lookback_set_op_kernelIN7rocprim17ROCPRIM_400000_NS13kernel_configILj256ELj16ELj4294967295EEELb0ENS0_6detail15normal_iteratorINS0_10device_ptrIKiEEEESD_PiSE_lNS0_16discard_iteratorINS0_11use_defaultEEESE_NS0_4lessIiEENS2_23serial_set_intersectionENS5_6detail19lookback_scan_stateIlLb0ELb1EEEEEvT1_T2_T3_T4_T6_T7_T8_T9_PNS0_4pairIT5_SX_EEPSX_T10_NSL_16ordered_block_idIjEE ; -- Begin function _ZN6thrust23THRUST_200600_302600_NS11hip_rocprim16__set_operations22lookback_set_op_kernelIN7rocprim17ROCPRIM_400000_NS13kernel_configILj256ELj16ELj4294967295EEELb0ENS0_6detail15normal_iteratorINS0_10device_ptrIKiEEEESD_PiSE_lNS0_16discard_iteratorINS0_11use_defaultEEESE_NS0_4lessIiEENS2_23serial_set_intersectionENS5_6detail19lookback_scan_stateIlLb0ELb1EEEEEvT1_T2_T3_T4_T6_T7_T8_T9_PNS0_4pairIT5_SX_EEPSX_T10_NSL_16ordered_block_idIjEE
	.globl	_ZN6thrust23THRUST_200600_302600_NS11hip_rocprim16__set_operations22lookback_set_op_kernelIN7rocprim17ROCPRIM_400000_NS13kernel_configILj256ELj16ELj4294967295EEELb0ENS0_6detail15normal_iteratorINS0_10device_ptrIKiEEEESD_PiSE_lNS0_16discard_iteratorINS0_11use_defaultEEESE_NS0_4lessIiEENS2_23serial_set_intersectionENS5_6detail19lookback_scan_stateIlLb0ELb1EEEEEvT1_T2_T3_T4_T6_T7_T8_T9_PNS0_4pairIT5_SX_EEPSX_T10_NSL_16ordered_block_idIjEE
	.p2align	8
	.type	_ZN6thrust23THRUST_200600_302600_NS11hip_rocprim16__set_operations22lookback_set_op_kernelIN7rocprim17ROCPRIM_400000_NS13kernel_configILj256ELj16ELj4294967295EEELb0ENS0_6detail15normal_iteratorINS0_10device_ptrIKiEEEESD_PiSE_lNS0_16discard_iteratorINS0_11use_defaultEEESE_NS0_4lessIiEENS2_23serial_set_intersectionENS5_6detail19lookback_scan_stateIlLb0ELb1EEEEEvT1_T2_T3_T4_T6_T7_T8_T9_PNS0_4pairIT5_SX_EEPSX_T10_NSL_16ordered_block_idIjEE,@function
_ZN6thrust23THRUST_200600_302600_NS11hip_rocprim16__set_operations22lookback_set_op_kernelIN7rocprim17ROCPRIM_400000_NS13kernel_configILj256ELj16ELj4294967295EEELb0ENS0_6detail15normal_iteratorINS0_10device_ptrIKiEEEESD_PiSE_lNS0_16discard_iteratorINS0_11use_defaultEEESE_NS0_4lessIiEENS2_23serial_set_intersectionENS5_6detail19lookback_scan_stateIlLb0ELb1EEEEEvT1_T2_T3_T4_T6_T7_T8_T9_PNS0_4pairIT5_SX_EEPSX_T10_NSL_16ordered_block_idIjEE: ; @_ZN6thrust23THRUST_200600_302600_NS11hip_rocprim16__set_operations22lookback_set_op_kernelIN7rocprim17ROCPRIM_400000_NS13kernel_configILj256ELj16ELj4294967295EEELb0ENS0_6detail15normal_iteratorINS0_10device_ptrIKiEEEESD_PiSE_lNS0_16discard_iteratorINS0_11use_defaultEEESE_NS0_4lessIiEENS2_23serial_set_intersectionENS5_6detail19lookback_scan_stateIlLb0ELb1EEEEEvT1_T2_T3_T4_T6_T7_T8_T9_PNS0_4pairIT5_SX_EEPSX_T10_NSL_16ordered_block_idIjEE
; %bb.0:
	s_clause 0x1
	s_load_b32 s3, s[0:1], 0x6c
	s_load_b32 s2, s[0:1], 0x60
	v_bfe_u32 v1, v0, 10, 10
	v_bfe_u32 v2, v0, 20, 10
	s_load_b256 s[24:31], s[0:1], 0x40
	v_and_b32_e32 v24, 0x3ff, v0
	s_delay_alu instid0(VALU_DEP_1) | instskip(SKIP_4) | instid1(VALU_DEP_1)
	v_sub_nc_u32_e32 v0, 0, v24
	s_wait_kmcnt 0x0
	s_lshr_b32 s4, s3, 16
	s_and_b32 s3, s3, 0xffff
	v_mad_u32_u24 v1, v2, s4, v1
	v_mul_lo_u32 v1, v1, s3
	s_mov_b32 s3, exec_lo
	s_delay_alu instid0(VALU_DEP_1)
	v_cmpx_eq_u32_e64 v1, v0
	s_cbranch_execz .LBB29_4
; %bb.1:
	s_mov_b32 s5, exec_lo
	s_mov_b32 s4, exec_lo
	v_mbcnt_lo_u32_b32 v0, s5, 0
                                        ; implicit-def: $vgpr1
	s_delay_alu instid0(VALU_DEP_1)
	v_cmpx_eq_u32_e32 0, v0
	s_cbranch_execz .LBB29_3
; %bb.2:
	s_bcnt1_i32_b32 s5, s5
	s_delay_alu instid0(SALU_CYCLE_1)
	v_dual_mov_b32 v1, 0 :: v_dual_mov_b32 v2, s5
	global_atomic_add_u32 v1, v1, v2, s[30:31] th:TH_ATOMIC_RETURN scope:SCOPE_DEV
.LBB29_3:
	s_wait_xcnt 0x0
	s_or_b32 exec_lo, exec_lo, s4
	s_wait_loadcnt 0x0
	v_readfirstlane_b32 s4, v1
	s_delay_alu instid0(VALU_DEP_1)
	v_dual_mov_b32 v1, 0 :: v_dual_add_nc_u32 v0, s4, v0
	ds_store_b32 v1, v0 offset:36864
.LBB29_4:
	s_or_b32 exec_lo, exec_lo, s3
	v_mov_b32_e32 v0, 0
	s_wait_dscnt 0x0
	s_barrier_signal -1
	s_barrier_wait -1
	ds_load_b32 v1, v0 offset:36864
	s_load_b128 s[4:7], s[0:1], 0x0
	s_add_co_i32 s2, s2, -1
	s_wait_xcnt 0x0
	s_mov_b32 s0, -1
	s_wait_dscnt 0x0
	s_clause 0x1
	global_load_b128 v[2:5], v1, s[24:25] scale_offset
	global_load_b128 v[6:9], v1, s[24:25] offset:16 scale_offset
	v_cmp_le_i32_e32 vcc_lo, s2, v1
	v_readfirstlane_b32 s23, v1
	s_and_b32 vcc_lo, exec_lo, vcc_lo
	s_wait_loadcnt 0x1
	v_readfirstlane_b32 s1, v2
	v_lshlrev_b64_e32 v[10:11], 2, v[4:5]
	s_wait_loadcnt 0x0
	v_readfirstlane_b32 s2, v6
	s_delay_alu instid0(VALU_DEP_3) | instskip(SKIP_3) | instid1(VALU_DEP_2)
	v_dual_mov_b32 v2, s1 :: v_dual_sub_nc_u32 v25, v8, v4
	s_sub_co_i32 s24, s2, s1
	s_wait_kmcnt 0x0
	v_add_nc_u64_e32 v[16:17], s[6:7], v[10:11]
	v_lshlrev_b64_e32 v[2:3], 2, v[2:3]
	s_delay_alu instid0(VALU_DEP_1)
	v_add_nc_u64_e32 v[18:19], s[4:5], v[2:3]
	s_cbranch_vccnz .LBB29_7
; %bb.5:
	s_and_b32 vcc_lo, exec_lo, s0
	s_cbranch_vccnz .LBB29_249
.LBB29_6:
	s_sendmsg sendmsg(MSG_DEALLOC_VGPRS)
	s_endpgm
.LBB29_7:
	v_dual_mov_b32 v1, v0 :: v_dual_add_nc_u32 v20, s24, v25
	v_dual_mov_b32 v2, v0 :: v_dual_mov_b32 v3, v0
	v_dual_mov_b32 v4, v0 :: v_dual_mov_b32 v5, v0
	v_dual_mov_b32 v6, v0 :: v_dual_mov_b32 v7, v0
	v_dual_mov_b32 v8, v0 :: v_dual_mov_b32 v9, v0
	v_dual_mov_b32 v10, v0 :: v_dual_mov_b32 v11, v0
	v_dual_mov_b32 v12, v0 :: v_dual_mov_b32 v13, v0
	v_dual_mov_b32 v14, v0 :: v_dual_mov_b32 v15, v0
	s_mov_b32 s0, exec_lo
	v_cmpx_lt_i32_e64 v24, v20
	s_cbranch_execz .LBB29_9
; %bb.8:
	v_dual_mov_b32 v1, 0 :: v_dual_lshlrev_b32 v0, 2, v24
	v_cmp_gt_i32_e32 vcc_lo, s24, v24
	s_delay_alu instid0(VALU_DEP_2) | instskip(SKIP_3) | instid1(VALU_DEP_3)
	v_add_nc_u64_e32 v[2:3], v[18:19], v[0:1]
	v_subrev_nc_u32_e32 v0, s24, v24
	v_dual_mov_b32 v6, v1 :: v_dual_mov_b32 v7, v1
	v_dual_mov_b32 v8, v1 :: v_dual_mov_b32 v9, v1
	v_lshl_add_u64 v[4:5], v[0:1], 2, v[16:17]
	v_dual_mov_b32 v10, v1 :: v_dual_mov_b32 v11, v1
	v_dual_mov_b32 v12, v1 :: v_dual_mov_b32 v13, v1
	s_delay_alu instid0(VALU_DEP_3)
	v_dual_cndmask_b32 v3, v5, v3 :: v_dual_cndmask_b32 v2, v4, v2
	v_dual_mov_b32 v4, v1 :: v_dual_mov_b32 v5, v1
	v_dual_mov_b32 v14, v1 :: v_dual_mov_b32 v15, v1
	global_load_b32 v0, v[2:3], off
	s_wait_xcnt 0x0
	v_dual_mov_b32 v2, v1 :: v_dual_mov_b32 v3, v1
.LBB29_9:
	s_or_b32 exec_lo, exec_lo, s0
	v_add_nc_u32_e32 v21, 0x100, v24
	s_mov_b32 s0, exec_lo
	s_delay_alu instid0(VALU_DEP_1)
	v_cmpx_lt_i32_e64 v21, v20
	s_cbranch_execz .LBB29_11
; %bb.10:
	v_dual_mov_b32 v23, 0 :: v_dual_lshlrev_b32 v22, 2, v24
	v_cmp_gt_i32_e32 vcc_lo, s24, v21
	s_delay_alu instid0(VALU_DEP_2) | instskip(SKIP_1) | instid1(VALU_DEP_1)
	v_add_nc_u64_e32 v[26:27], v[18:19], v[22:23]
	v_subrev_nc_u32_e32 v22, s24, v21
	v_lshl_add_u64 v[22:23], v[22:23], 2, v[16:17]
	s_delay_alu instid0(VALU_DEP_3) | instskip(NEXT) | instid1(VALU_DEP_1)
	v_add_nc_u64_e32 v[26:27], 0x400, v[26:27]
	v_dual_cndmask_b32 v23, v23, v27 :: v_dual_cndmask_b32 v22, v22, v26
	global_load_b32 v1, v[22:23], off
.LBB29_11:
	s_wait_xcnt 0x0
	s_or_b32 exec_lo, exec_lo, s0
	v_add_nc_u32_e32 v21, 0x200, v24
	s_mov_b32 s0, exec_lo
	s_delay_alu instid0(VALU_DEP_1)
	v_cmpx_lt_i32_e64 v21, v20
	s_cbranch_execz .LBB29_13
; %bb.12:
	v_dual_mov_b32 v23, 0 :: v_dual_lshlrev_b32 v22, 2, v24
	v_cmp_gt_i32_e32 vcc_lo, s24, v21
	s_delay_alu instid0(VALU_DEP_2) | instskip(SKIP_1) | instid1(VALU_DEP_1)
	v_add_nc_u64_e32 v[26:27], v[18:19], v[22:23]
	v_subrev_nc_u32_e32 v22, s24, v21
	v_lshl_add_u64 v[22:23], v[22:23], 2, v[16:17]
	s_delay_alu instid0(VALU_DEP_3) | instskip(NEXT) | instid1(VALU_DEP_1)
	v_add_nc_u64_e32 v[26:27], 0x800, v[26:27]
	v_dual_cndmask_b32 v23, v23, v27 :: v_dual_cndmask_b32 v22, v22, v26
	global_load_b32 v2, v[22:23], off
.LBB29_13:
	s_wait_xcnt 0x0
	;; [unrolled: 19-line block ×3, first 2 shown]
	s_or_b32 exec_lo, exec_lo, s0
	v_or_b32_e32 v21, 0x400, v24
	s_mov_b32 s0, exec_lo
	s_delay_alu instid0(VALU_DEP_1)
	v_cmpx_lt_i32_e64 v21, v20
	s_cbranch_execz .LBB29_17
; %bb.16:
	v_dual_mov_b32 v23, 0 :: v_dual_lshlrev_b32 v22, 2, v24
	v_cmp_gt_i32_e32 vcc_lo, s24, v21
	s_delay_alu instid0(VALU_DEP_2) | instskip(SKIP_1) | instid1(VALU_DEP_1)
	v_add_nc_u64_e32 v[26:27], v[18:19], v[22:23]
	v_subrev_nc_u32_e32 v22, s24, v21
	v_lshl_add_u64 v[22:23], v[22:23], 2, v[16:17]
	s_delay_alu instid0(VALU_DEP_3) | instskip(NEXT) | instid1(VALU_DEP_1)
	v_add_nc_u64_e32 v[26:27], 0x1000, v[26:27]
	v_dual_cndmask_b32 v23, v23, v27 :: v_dual_cndmask_b32 v22, v22, v26
	global_load_b32 v4, v[22:23], off
.LBB29_17:
	s_wait_xcnt 0x0
	s_or_b32 exec_lo, exec_lo, s0
	v_add_nc_u32_e32 v21, 0x500, v24
	s_mov_b32 s0, exec_lo
	s_delay_alu instid0(VALU_DEP_1)
	v_cmpx_lt_i32_e64 v21, v20
	s_cbranch_execz .LBB29_19
; %bb.18:
	v_dual_mov_b32 v23, 0 :: v_dual_lshlrev_b32 v22, 2, v24
	v_cmp_gt_i32_e32 vcc_lo, s24, v21
	s_delay_alu instid0(VALU_DEP_2) | instskip(SKIP_1) | instid1(VALU_DEP_1)
	v_add_nc_u64_e32 v[26:27], v[18:19], v[22:23]
	v_subrev_nc_u32_e32 v22, s24, v21
	v_lshl_add_u64 v[22:23], v[22:23], 2, v[16:17]
	s_delay_alu instid0(VALU_DEP_3) | instskip(NEXT) | instid1(VALU_DEP_1)
	v_add_nc_u64_e32 v[26:27], 0x1400, v[26:27]
	v_dual_cndmask_b32 v23, v23, v27 :: v_dual_cndmask_b32 v22, v22, v26
	global_load_b32 v5, v[22:23], off
.LBB29_19:
	s_wait_xcnt 0x0
	s_or_b32 exec_lo, exec_lo, s0
	v_add_nc_u32_e32 v21, 0x600, v24
	;; [unrolled: 19-line block ×3, first 2 shown]
	s_mov_b32 s0, exec_lo
	s_delay_alu instid0(VALU_DEP_1)
	v_cmpx_lt_i32_e64 v21, v20
	s_cbranch_execz .LBB29_23
; %bb.22:
	v_dual_mov_b32 v23, 0 :: v_dual_lshlrev_b32 v22, 2, v24
	v_cmp_gt_i32_e32 vcc_lo, s24, v21
	s_delay_alu instid0(VALU_DEP_2) | instskip(SKIP_1) | instid1(VALU_DEP_1)
	v_add_nc_u64_e32 v[26:27], v[18:19], v[22:23]
	v_subrev_nc_u32_e32 v22, s24, v21
	v_lshl_add_u64 v[22:23], v[22:23], 2, v[16:17]
	s_delay_alu instid0(VALU_DEP_3) | instskip(NEXT) | instid1(VALU_DEP_1)
	v_add_nc_u64_e32 v[26:27], 0x1c00, v[26:27]
	v_dual_cndmask_b32 v23, v23, v27 :: v_dual_cndmask_b32 v22, v22, v26
	global_load_b32 v7, v[22:23], off
.LBB29_23:
	s_wait_xcnt 0x0
	s_or_b32 exec_lo, exec_lo, s0
	v_or_b32_e32 v21, 0x800, v24
	s_mov_b32 s0, exec_lo
	s_delay_alu instid0(VALU_DEP_1)
	v_cmpx_lt_i32_e64 v21, v20
	s_cbranch_execz .LBB29_25
; %bb.24:
	v_dual_mov_b32 v23, 0 :: v_dual_lshlrev_b32 v22, 2, v24
	v_cmp_gt_i32_e32 vcc_lo, s24, v21
	s_delay_alu instid0(VALU_DEP_2) | instskip(SKIP_1) | instid1(VALU_DEP_1)
	v_add_nc_u64_e32 v[26:27], v[18:19], v[22:23]
	v_subrev_nc_u32_e32 v22, s24, v21
	v_lshl_add_u64 v[22:23], v[22:23], 2, v[16:17]
	s_delay_alu instid0(VALU_DEP_3) | instskip(NEXT) | instid1(VALU_DEP_1)
	v_add_nc_u64_e32 v[26:27], 0x2000, v[26:27]
	v_dual_cndmask_b32 v23, v23, v27 :: v_dual_cndmask_b32 v22, v22, v26
	global_load_b32 v8, v[22:23], off
.LBB29_25:
	s_wait_xcnt 0x0
	s_or_b32 exec_lo, exec_lo, s0
	v_add_nc_u32_e32 v21, 0x900, v24
	s_mov_b32 s0, exec_lo
	s_delay_alu instid0(VALU_DEP_1)
	v_cmpx_lt_i32_e64 v21, v20
	s_cbranch_execz .LBB29_27
; %bb.26:
	v_dual_mov_b32 v23, 0 :: v_dual_lshlrev_b32 v22, 2, v24
	v_cmp_gt_i32_e32 vcc_lo, s24, v21
	s_delay_alu instid0(VALU_DEP_2) | instskip(SKIP_1) | instid1(VALU_DEP_1)
	v_add_nc_u64_e32 v[26:27], v[18:19], v[22:23]
	v_subrev_nc_u32_e32 v22, s24, v21
	v_lshl_add_u64 v[22:23], v[22:23], 2, v[16:17]
	s_delay_alu instid0(VALU_DEP_3) | instskip(NEXT) | instid1(VALU_DEP_1)
	v_add_nc_u64_e32 v[26:27], 0x2400, v[26:27]
	v_dual_cndmask_b32 v23, v23, v27 :: v_dual_cndmask_b32 v22, v22, v26
	global_load_b32 v9, v[22:23], off
.LBB29_27:
	s_wait_xcnt 0x0
	s_or_b32 exec_lo, exec_lo, s0
	v_add_nc_u32_e32 v21, 0xa00, v24
	;; [unrolled: 19-line block ×3, first 2 shown]
	s_mov_b32 s0, exec_lo
	s_delay_alu instid0(VALU_DEP_1)
	v_cmpx_lt_i32_e64 v21, v20
	s_cbranch_execz .LBB29_31
; %bb.30:
	v_dual_mov_b32 v23, 0 :: v_dual_lshlrev_b32 v22, 2, v24
	v_cmp_gt_i32_e32 vcc_lo, s24, v21
	s_delay_alu instid0(VALU_DEP_2) | instskip(SKIP_1) | instid1(VALU_DEP_1)
	v_add_nc_u64_e32 v[26:27], v[18:19], v[22:23]
	v_subrev_nc_u32_e32 v22, s24, v21
	v_lshl_add_u64 v[22:23], v[22:23], 2, v[16:17]
	s_delay_alu instid0(VALU_DEP_3) | instskip(NEXT) | instid1(VALU_DEP_1)
	v_add_nc_u64_e32 v[26:27], 0x2c00, v[26:27]
	v_dual_cndmask_b32 v23, v23, v27 :: v_dual_cndmask_b32 v22, v22, v26
	global_load_b32 v11, v[22:23], off
.LBB29_31:
	s_wait_xcnt 0x0
	s_or_b32 exec_lo, exec_lo, s0
	v_or_b32_e32 v21, 0xc00, v24
	s_mov_b32 s0, exec_lo
	s_delay_alu instid0(VALU_DEP_1)
	v_cmpx_lt_i32_e64 v21, v20
	s_cbranch_execz .LBB29_33
; %bb.32:
	v_dual_mov_b32 v23, 0 :: v_dual_lshlrev_b32 v22, 2, v24
	v_cmp_gt_i32_e32 vcc_lo, s24, v21
	s_delay_alu instid0(VALU_DEP_2) | instskip(SKIP_1) | instid1(VALU_DEP_1)
	v_add_nc_u64_e32 v[26:27], v[18:19], v[22:23]
	v_subrev_nc_u32_e32 v22, s24, v21
	v_lshl_add_u64 v[22:23], v[22:23], 2, v[16:17]
	s_delay_alu instid0(VALU_DEP_3) | instskip(NEXT) | instid1(VALU_DEP_1)
	v_add_nc_u64_e32 v[26:27], 0x3000, v[26:27]
	v_dual_cndmask_b32 v23, v23, v27 :: v_dual_cndmask_b32 v22, v22, v26
	global_load_b32 v12, v[22:23], off
.LBB29_33:
	s_wait_xcnt 0x0
	s_or_b32 exec_lo, exec_lo, s0
	v_add_nc_u32_e32 v21, 0xd00, v24
	s_mov_b32 s0, exec_lo
	s_delay_alu instid0(VALU_DEP_1)
	v_cmpx_lt_i32_e64 v21, v20
	s_cbranch_execz .LBB29_35
; %bb.34:
	v_dual_mov_b32 v23, 0 :: v_dual_lshlrev_b32 v22, 2, v24
	v_cmp_gt_i32_e32 vcc_lo, s24, v21
	s_delay_alu instid0(VALU_DEP_2) | instskip(SKIP_1) | instid1(VALU_DEP_1)
	v_add_nc_u64_e32 v[26:27], v[18:19], v[22:23]
	v_subrev_nc_u32_e32 v22, s24, v21
	v_lshl_add_u64 v[22:23], v[22:23], 2, v[16:17]
	s_delay_alu instid0(VALU_DEP_3) | instskip(NEXT) | instid1(VALU_DEP_1)
	v_add_nc_u64_e32 v[26:27], 0x3400, v[26:27]
	v_dual_cndmask_b32 v23, v23, v27 :: v_dual_cndmask_b32 v22, v22, v26
	global_load_b32 v13, v[22:23], off
.LBB29_35:
	s_wait_xcnt 0x0
	s_or_b32 exec_lo, exec_lo, s0
	v_add_nc_u32_e32 v21, 0xe00, v24
	;; [unrolled: 19-line block ×3, first 2 shown]
	s_mov_b32 s0, exec_lo
	s_delay_alu instid0(VALU_DEP_1)
	v_cmpx_lt_i32_e64 v21, v20
	s_cbranch_execz .LBB29_39
; %bb.38:
	v_dual_mov_b32 v23, 0 :: v_dual_lshlrev_b32 v22, 2, v24
	v_cmp_gt_i32_e32 vcc_lo, s24, v21
	s_delay_alu instid0(VALU_DEP_2) | instskip(SKIP_1) | instid1(VALU_DEP_1)
	v_add_nc_u64_e32 v[26:27], v[18:19], v[22:23]
	v_subrev_nc_u32_e32 v22, s24, v21
	v_lshl_add_u64 v[22:23], v[22:23], 2, v[16:17]
	s_delay_alu instid0(VALU_DEP_3) | instskip(NEXT) | instid1(VALU_DEP_1)
	v_add_nc_u64_e32 v[26:27], 0x3c00, v[26:27]
	v_dual_cndmask_b32 v23, v23, v27 :: v_dual_cndmask_b32 v22, v22, v26
	global_load_b32 v15, v[22:23], off
.LBB29_39:
	s_wait_xcnt 0x0
	s_or_b32 exec_lo, exec_lo, s0
	v_lshlrev_b32_e32 v26, 2, v24
	s_lshl_b32 s0, s24, 2
	s_mov_b32 s2, 0
	s_addk_co_i32 s0, 0x4800
	s_mov_b32 s1, exec_lo
	s_wait_loadcnt 0x0
	ds_store_2addr_stride64_b32 v26, v2, v3 offset0:84 offset1:88
	ds_store_2addr_stride64_b32 v26, v4, v5 offset0:92 offset1:96
	;; [unrolled: 1-line block ×6, first 2 shown]
	v_lshlrev_b32_e32 v0, 4, v24
	ds_store_2addr_stride64_b32 v26, v12, v13 offset0:124 offset1:128
	ds_store_2addr_stride64_b32 v26, v14, v15 offset0:132 offset1:136
	s_wait_dscnt 0x0
	s_barrier_signal -1
	v_min_i32_e32 v1, v20, v0
	s_barrier_wait -1
	s_delay_alu instid0(VALU_DEP_1) | instskip(SKIP_1) | instid1(VALU_DEP_2)
	v_sub_nc_u32_e32 v0, v1, v25
	v_min_i32_e32 v2, s24, v1
	v_max_i32_e32 v0, 0, v0
	s_delay_alu instid0(VALU_DEP_1)
	v_cmpx_lt_i32_e64 v0, v2
	s_cbranch_execz .LBB29_43
; %bb.40:
	v_lshlrev_b32_e32 v3, 2, v1
	s_delay_alu instid0(VALU_DEP_1)
	v_add3_u32 v3, s0, v3, 0x400
.LBB29_41:                              ; =>This Inner Loop Header: Depth=1
	v_add_nc_u32_e32 v4, v2, v0
	s_delay_alu instid0(VALU_DEP_1) | instskip(NEXT) | instid1(VALU_DEP_1)
	v_lshrrev_b32_e32 v4, 1, v4
	v_not_b32_e32 v5, v4
	v_dual_lshlrev_b32 v6, 2, v4 :: v_dual_add_nc_u32 v7, 1, v4
	s_delay_alu instid0(VALU_DEP_2)
	v_lshl_add_u32 v5, v5, 2, v3
	ds_load_b32 v6, v6 offset:19456
	ds_load_b32 v5, v5
	s_wait_dscnt 0x0
	v_cmp_lt_i32_e32 vcc_lo, v5, v6
	v_cndmask_b32_e32 v2, v2, v4, vcc_lo
	v_cndmask_b32_e32 v0, v7, v0, vcc_lo
	s_delay_alu instid0(VALU_DEP_1) | instskip(SKIP_1) | instid1(SALU_CYCLE_1)
	v_cmp_ge_i32_e32 vcc_lo, v0, v2
	s_or_b32 s2, vcc_lo, s2
	s_and_not1_b32 exec_lo, exec_lo, s2
	s_cbranch_execnz .LBB29_41
; %bb.42:
	s_or_b32 exec_lo, exec_lo, s2
.LBB29_43:
	s_delay_alu instid0(SALU_CYCLE_1) | instskip(SKIP_3) | instid1(VALU_DEP_1)
	s_or_b32 exec_lo, exec_lo, s1
	v_add_nc_u32_e32 v27, 0x4800, v26
	v_dual_sub_nc_u32 v5, v1, v0 :: v_dual_mov_b32 v3, 0
	s_mov_b32 s1, exec_lo
	v_cmpx_lt_i32_e64 v5, v25
	s_cbranch_execz .LBB29_73
; %bb.44:
	v_lshl_add_u32 v3, v5, 2, s0
	v_dual_mov_b32 v2, 0 :: v_dual_mov_b32 v6, 0
	s_mov_b32 s2, exec_lo
	ds_load_b32 v4, v3 offset:1024
	v_cmpx_lt_i32_e32 0, v0
	s_cbranch_execnz .LBB29_49
; %bb.45:
	s_or_b32 exec_lo, exec_lo, s2
	s_delay_alu instid0(SALU_CYCLE_1)
	s_mov_b32 s2, exec_lo
	v_cmpx_lt_i32_e64 v2, v6
	s_cbranch_execnz .LBB29_50
.LBB29_46:
	s_or_b32 exec_lo, exec_lo, s2
	s_delay_alu instid0(SALU_CYCLE_1)
	s_mov_b32 s2, exec_lo
	v_cmpx_lt_i32_e64 v2, v6
	s_cbranch_execnz .LBB29_51
.LBB29_47:
	s_or_b32 exec_lo, exec_lo, s2
	s_delay_alu instid0(SALU_CYCLE_1)
	s_mov_b32 s2, exec_lo
	v_cmpx_lt_i32_e64 v2, v6
	s_cbranch_execnz .LBB29_52
.LBB29_48:
	s_or_b32 exec_lo, exec_lo, s2
	s_delay_alu instid0(SALU_CYCLE_1)
	s_mov_b32 s2, exec_lo
	v_cmpx_lt_i32_e64 v2, v6
	s_cbranch_execnz .LBB29_53
	s_branch .LBB29_56
.LBB29_49:
	v_mul_lo_u32 v2, 0x1ff, v0
	s_delay_alu instid0(VALU_DEP_1) | instskip(NEXT) | instid1(VALU_DEP_1)
	v_ashrrev_i32_e32 v6, 9, v2
	v_dual_lshlrev_b32 v2, 2, v6 :: v_dual_add_nc_u32 v7, 1, v6
	ds_load_b32 v2, v2 offset:19456
	s_wait_dscnt 0x0
	v_cmp_lt_i32_e32 vcc_lo, v2, v4
	v_dual_cndmask_b32 v2, 0, v7, vcc_lo :: v_dual_cndmask_b32 v6, v6, v0, vcc_lo
	s_or_b32 exec_lo, exec_lo, s2
	s_delay_alu instid0(SALU_CYCLE_1) | instskip(NEXT) | instid1(VALU_DEP_1)
	s_mov_b32 s2, exec_lo
	v_cmpx_lt_i32_e64 v2, v6
	s_cbranch_execz .LBB29_46
.LBB29_50:
	v_sub_nc_u32_e32 v7, v2, v6
	s_delay_alu instid0(VALU_DEP_1) | instskip(NEXT) | instid1(VALU_DEP_1)
	v_lshl_add_u32 v7, v6, 7, v7
	v_ashrrev_i32_e32 v7, 7, v7
	s_delay_alu instid0(VALU_DEP_1)
	v_dual_lshlrev_b32 v8, 2, v7 :: v_dual_add_nc_u32 v9, 1, v7
	ds_load_b32 v8, v8 offset:19456
	s_wait_dscnt 0x0
	v_cmp_lt_i32_e32 vcc_lo, v8, v4
	v_dual_cndmask_b32 v2, v2, v9, vcc_lo :: v_dual_cndmask_b32 v6, v7, v6, vcc_lo
	s_or_b32 exec_lo, exec_lo, s2
	s_delay_alu instid0(SALU_CYCLE_1) | instskip(NEXT) | instid1(VALU_DEP_1)
	s_mov_b32 s2, exec_lo
	v_cmpx_lt_i32_e64 v2, v6
	s_cbranch_execz .LBB29_47
.LBB29_51:
	v_sub_nc_u32_e32 v7, v2, v6
	s_delay_alu instid0(VALU_DEP_1) | instskip(NEXT) | instid1(VALU_DEP_1)
	v_lshl_add_u32 v7, v6, 5, v7
	v_ashrrev_i32_e32 v7, 5, v7
	s_delay_alu instid0(VALU_DEP_1)
	v_dual_lshlrev_b32 v8, 2, v7 :: v_dual_add_nc_u32 v9, 1, v7
	ds_load_b32 v8, v8 offset:19456
	s_wait_dscnt 0x0
	v_cmp_lt_i32_e32 vcc_lo, v8, v4
	v_dual_cndmask_b32 v2, v2, v9, vcc_lo :: v_dual_cndmask_b32 v6, v7, v6, vcc_lo
	s_or_b32 exec_lo, exec_lo, s2
	s_delay_alu instid0(SALU_CYCLE_1) | instskip(NEXT) | instid1(VALU_DEP_1)
	s_mov_b32 s2, exec_lo
	v_cmpx_lt_i32_e64 v2, v6
	s_cbranch_execz .LBB29_48
.LBB29_52:
	v_sub_nc_u32_e32 v7, v2, v6
	s_delay_alu instid0(VALU_DEP_1) | instskip(NEXT) | instid1(VALU_DEP_1)
	v_lshl_add_u32 v7, v6, 4, v7
	v_ashrrev_i32_e32 v7, 4, v7
	s_delay_alu instid0(VALU_DEP_1)
	v_dual_lshlrev_b32 v8, 2, v7 :: v_dual_add_nc_u32 v9, 1, v7
	ds_load_b32 v8, v8 offset:19456
	s_wait_dscnt 0x0
	v_cmp_lt_i32_e32 vcc_lo, v8, v4
	v_dual_cndmask_b32 v2, v2, v9, vcc_lo :: v_dual_cndmask_b32 v6, v7, v6, vcc_lo
	s_or_b32 exec_lo, exec_lo, s2
	s_delay_alu instid0(SALU_CYCLE_1) | instskip(NEXT) | instid1(VALU_DEP_1)
	s_mov_b32 s2, exec_lo
	v_cmpx_lt_i32_e64 v2, v6
	s_cbranch_execz .LBB29_56
.LBB29_53:
	s_mov_b32 s3, 0
.LBB29_54:                              ; =>This Inner Loop Header: Depth=1
	v_sub_nc_u32_e32 v7, v2, v6
	s_delay_alu instid0(VALU_DEP_1) | instskip(NEXT) | instid1(VALU_DEP_1)
	v_lshl_add_u32 v7, v6, 1, v7
	v_ashrrev_i32_e32 v7, 1, v7
	s_delay_alu instid0(VALU_DEP_1) | instskip(SKIP_4) | instid1(VALU_DEP_1)
	v_dual_lshlrev_b32 v8, 2, v7 :: v_dual_add_nc_u32 v9, 1, v7
	ds_load_b32 v8, v8 offset:19456
	s_wait_dscnt 0x0
	v_cmp_lt_i32_e32 vcc_lo, v8, v4
	v_dual_cndmask_b32 v2, v2, v9, vcc_lo :: v_dual_cndmask_b32 v6, v7, v6, vcc_lo
	v_cmp_ge_i32_e32 vcc_lo, v2, v6
	s_or_b32 s3, vcc_lo, s3
	s_delay_alu instid0(SALU_CYCLE_1)
	s_and_not1_b32 exec_lo, exec_lo, s3
	s_cbranch_execnz .LBB29_54
; %bb.55:
	s_or_b32 exec_lo, exec_lo, s3
.LBB29_56:
	s_delay_alu instid0(SALU_CYCLE_1)
	s_or_b32 exec_lo, exec_lo, s2
	v_dual_mov_b32 v6, 0 :: v_dual_mov_b32 v7, v5
	s_mov_b32 s2, exec_lo
	v_cmpx_lt_i32_e32 0, v5
	s_cbranch_execnz .LBB29_61
; %bb.57:
	s_or_b32 exec_lo, exec_lo, s2
	s_delay_alu instid0(SALU_CYCLE_1)
	s_mov_b32 s2, exec_lo
	v_cmpx_lt_i32_e64 v6, v7
	s_cbranch_execnz .LBB29_62
.LBB29_58:
	s_or_b32 exec_lo, exec_lo, s2
	s_delay_alu instid0(SALU_CYCLE_1)
	s_mov_b32 s2, exec_lo
	v_cmpx_lt_i32_e64 v6, v7
	s_cbranch_execnz .LBB29_63
.LBB29_59:
	s_or_b32 exec_lo, exec_lo, s2
	s_delay_alu instid0(SALU_CYCLE_1)
	s_mov_b32 s2, exec_lo
	v_cmpx_lt_i32_e64 v6, v7
	s_cbranch_execnz .LBB29_64
.LBB29_60:
	s_or_b32 exec_lo, exec_lo, s2
	s_delay_alu instid0(SALU_CYCLE_1)
	s_mov_b32 s2, exec_lo
	v_cmpx_lt_i32_e64 v6, v7
	s_cbranch_execnz .LBB29_65
	s_branch .LBB29_68
.LBB29_61:
	v_mul_lo_u32 v6, 0x1ff, v5
	s_delay_alu instid0(VALU_DEP_1) | instskip(NEXT) | instid1(VALU_DEP_1)
	v_lshrrev_b32_e32 v7, 9, v6
	v_lshl_add_u32 v6, v7, 2, s0
	ds_load_b32 v6, v6 offset:1024
	s_wait_dscnt 0x0
	v_cmp_lt_i32_e32 vcc_lo, v6, v4
	v_add_nc_u32_e32 v8, 1, v7
	s_delay_alu instid0(VALU_DEP_1) | instskip(SKIP_1) | instid1(SALU_CYCLE_1)
	v_dual_cndmask_b32 v6, 0, v8 :: v_dual_cndmask_b32 v7, v7, v5
	s_or_b32 exec_lo, exec_lo, s2
	s_mov_b32 s2, exec_lo
	s_delay_alu instid0(VALU_DEP_1)
	v_cmpx_lt_i32_e64 v6, v7
	s_cbranch_execz .LBB29_58
.LBB29_62:
	v_sub_nc_u32_e32 v8, v6, v7
	s_delay_alu instid0(VALU_DEP_1) | instskip(NEXT) | instid1(VALU_DEP_1)
	v_lshl_add_u32 v8, v7, 7, v8
	v_ashrrev_i32_e32 v8, 7, v8
	s_delay_alu instid0(VALU_DEP_1) | instskip(SKIP_4) | instid1(VALU_DEP_1)
	v_lshl_add_u32 v9, v8, 2, s0
	ds_load_b32 v9, v9 offset:1024
	s_wait_dscnt 0x0
	v_cmp_lt_i32_e32 vcc_lo, v9, v4
	v_dual_cndmask_b32 v7, v8, v7 :: v_dual_add_nc_u32 v10, 1, v8
	v_cndmask_b32_e32 v6, v6, v10, vcc_lo
	s_or_b32 exec_lo, exec_lo, s2
	s_delay_alu instid0(SALU_CYCLE_1) | instskip(NEXT) | instid1(VALU_DEP_1)
	s_mov_b32 s2, exec_lo
	v_cmpx_lt_i32_e64 v6, v7
	s_cbranch_execz .LBB29_59
.LBB29_63:
	v_sub_nc_u32_e32 v8, v6, v7
	s_delay_alu instid0(VALU_DEP_1) | instskip(NEXT) | instid1(VALU_DEP_1)
	v_lshl_add_u32 v8, v7, 5, v8
	v_ashrrev_i32_e32 v8, 5, v8
	s_delay_alu instid0(VALU_DEP_1) | instskip(SKIP_4) | instid1(VALU_DEP_1)
	v_lshl_add_u32 v9, v8, 2, s0
	ds_load_b32 v9, v9 offset:1024
	s_wait_dscnt 0x0
	v_cmp_lt_i32_e32 vcc_lo, v9, v4
	v_dual_cndmask_b32 v7, v8, v7 :: v_dual_add_nc_u32 v10, 1, v8
	v_cndmask_b32_e32 v6, v6, v10, vcc_lo
	s_or_b32 exec_lo, exec_lo, s2
	s_delay_alu instid0(SALU_CYCLE_1) | instskip(NEXT) | instid1(VALU_DEP_1)
	s_mov_b32 s2, exec_lo
	v_cmpx_lt_i32_e64 v6, v7
	s_cbranch_execz .LBB29_60
.LBB29_64:
	v_sub_nc_u32_e32 v8, v6, v7
	s_delay_alu instid0(VALU_DEP_1) | instskip(NEXT) | instid1(VALU_DEP_1)
	v_lshl_add_u32 v8, v7, 4, v8
	v_ashrrev_i32_e32 v8, 4, v8
	s_delay_alu instid0(VALU_DEP_1) | instskip(SKIP_4) | instid1(VALU_DEP_1)
	v_lshl_add_u32 v9, v8, 2, s0
	ds_load_b32 v9, v9 offset:1024
	s_wait_dscnt 0x0
	v_cmp_lt_i32_e32 vcc_lo, v9, v4
	v_dual_cndmask_b32 v7, v8, v7 :: v_dual_add_nc_u32 v10, 1, v8
	v_cndmask_b32_e32 v6, v6, v10, vcc_lo
	s_or_b32 exec_lo, exec_lo, s2
	s_delay_alu instid0(SALU_CYCLE_1) | instskip(NEXT) | instid1(VALU_DEP_1)
	s_mov_b32 s2, exec_lo
	v_cmpx_lt_i32_e64 v6, v7
	s_cbranch_execz .LBB29_68
.LBB29_65:
	s_mov_b32 s3, 0
.LBB29_66:                              ; =>This Inner Loop Header: Depth=1
	v_sub_nc_u32_e32 v8, v6, v7
	s_delay_alu instid0(VALU_DEP_1) | instskip(NEXT) | instid1(VALU_DEP_1)
	v_lshl_add_u32 v8, v7, 1, v8
	v_ashrrev_i32_e32 v8, 1, v8
	s_delay_alu instid0(VALU_DEP_1) | instskip(SKIP_4) | instid1(VALU_DEP_1)
	v_lshl_add_u32 v9, v8, 2, s0
	ds_load_b32 v9, v9 offset:1024
	s_wait_dscnt 0x0
	v_cmp_lt_i32_e32 vcc_lo, v9, v4
	v_dual_cndmask_b32 v7, v8, v7 :: v_dual_add_nc_u32 v10, 1, v8
	v_cndmask_b32_e32 v6, v6, v10, vcc_lo
	s_delay_alu instid0(VALU_DEP_1) | instskip(SKIP_1) | instid1(SALU_CYCLE_1)
	v_cmp_ge_i32_e32 vcc_lo, v6, v7
	s_or_b32 s3, vcc_lo, s3
	s_and_not1_b32 exec_lo, exec_lo, s3
	s_cbranch_execnz .LBB29_66
; %bb.67:
	s_or_b32 exec_lo, exec_lo, s3
.LBB29_68:
	s_delay_alu instid0(SALU_CYCLE_1) | instskip(SKIP_3) | instid1(VALU_DEP_1)
	s_or_b32 exec_lo, exec_lo, s2
	v_sub_nc_u32_e32 v0, v0, v2
	v_sub_nc_u32_e32 v8, v5, v6
	s_mov_b32 s0, exec_lo
	v_add_nc_u32_e32 v7, v8, v0
	s_delay_alu instid0(VALU_DEP_1) | instskip(NEXT) | instid1(VALU_DEP_1)
	v_ashrrev_i32_e32 v0, 1, v7
	v_max_i32_e32 v0, v0, v8
	s_delay_alu instid0(VALU_DEP_1) | instskip(NEXT) | instid1(VALU_DEP_1)
	v_add_nc_u32_e32 v6, v6, v0
	v_add_min_i32_e64 v6, v6, 1, v25
	s_delay_alu instid0(VALU_DEP_1) | instskip(NEXT) | instid1(VALU_DEP_1)
	v_dual_mov_b32 v5, 0 :: v_dual_sub_nc_u32 v6, v6, v5
	v_cmpx_lt_i32_e32 0, v6
	s_cbranch_execz .LBB29_72
; %bb.69:
	v_mov_b32_e32 v5, 0
	s_mov_b32 s2, 0
.LBB29_70:                              ; =>This Inner Loop Header: Depth=1
	s_delay_alu instid0(VALU_DEP_1) | instskip(NEXT) | instid1(VALU_DEP_1)
	v_add_nc_u32_e32 v9, v5, v6
	v_lshrrev_b32_e32 v9, 1, v9
	s_delay_alu instid0(VALU_DEP_1) | instskip(SKIP_4) | instid1(VALU_DEP_1)
	v_lshl_add_u32 v10, v9, 2, v3
	ds_load_b32 v10, v10 offset:1024
	s_wait_dscnt 0x0
	v_cmp_lt_i32_e32 vcc_lo, v4, v10
	v_dual_cndmask_b32 v6, v6, v9 :: v_dual_add_nc_u32 v11, 1, v9
	v_cndmask_b32_e32 v5, v11, v5, vcc_lo
	s_delay_alu instid0(VALU_DEP_1) | instskip(SKIP_1) | instid1(SALU_CYCLE_1)
	v_cmp_ge_i32_e32 vcc_lo, v5, v6
	s_or_b32 s2, vcc_lo, s2
	s_and_not1_b32 exec_lo, exec_lo, s2
	s_cbranch_execnz .LBB29_70
; %bb.71:
	s_or_b32 exec_lo, exec_lo, s2
.LBB29_72:
	s_delay_alu instid0(SALU_CYCLE_1) | instskip(NEXT) | instid1(VALU_DEP_2)
	s_or_b32 exec_lo, exec_lo, s0
	v_add_nc_u32_e32 v3, v5, v8
	s_wait_dscnt 0x0
	s_delay_alu instid0(VALU_DEP_1) | instskip(SKIP_1) | instid1(VALU_DEP_2)
	v_min_i32_e32 v4, v3, v0
	v_cmp_lt_i32_e32 vcc_lo, v0, v3
	v_dual_sub_nc_u32 v5, v7, v4 :: v_dual_add_nc_u32 v4, 1, v4
	s_delay_alu instid0(VALU_DEP_1) | instskip(NEXT) | instid1(VALU_DEP_2)
	v_add_nc_u32_e32 v0, v5, v2
	v_cmp_eq_u32_e64 s0, v5, v4
	s_and_b32 s0, vcc_lo, s0
	s_delay_alu instid0(SALU_CYCLE_1)
	v_cndmask_b32_e64 v3, 0, 1, s0
.LBB29_73:
	s_or_b32 exec_lo, exec_lo, s1
	s_lshl_b32 s0, s24, 16
	s_mov_b32 s1, exec_lo
	v_or_b32_e32 v2, s0, v25
	v_sub_co_u32 v4, s0, v24, 1
	v_lshlrev_b32_e32 v5, 2, v0
	s_delay_alu instid0(VALU_DEP_2) | instskip(NEXT) | instid1(VALU_DEP_1)
	v_cndmask_b32_e64 v4, v4, 0xff, s0
	v_dual_lshlrev_b32 v4, 2, v4 :: v_dual_add_nc_u32 v1, v3, v1
	s_delay_alu instid0(VALU_DEP_1) | instskip(NEXT) | instid1(VALU_DEP_1)
	v_sub_nc_u32_e32 v1, v1, v0
	v_lshl_or_b32 v3, v0, 16, v1
	s_delay_alu instid0(VALU_DEP_1)
	v_dual_cndmask_b32 v3, v3, v2, s0 :: v_dual_add_nc_u32 v2, s24, v1
	ds_store_b32 v4, v3 offset:18432
	v_dual_lshlrev_b32 v6, 2, v2 :: v_dual_mov_b32 v4, v0
	s_wait_dscnt 0x0
	s_barrier_signal -1
	s_barrier_wait -1
	ds_load_b32 v29, v5 offset:19456
	ds_load_b32 v3, v6 offset:19456
	ds_load_b32 v11, v27
	s_wait_dscnt 0x2
	v_mov_b32_e32 v28, v29
	s_wait_dscnt 0x1
	v_cmpx_ge_i32_e64 v3, v29
; %bb.74:
	v_add_nc_u32_e32 v4, 0x4800, v5
	ds_load_b32 v28, v4 offset:1028
	v_add_nc_u32_e32 v4, 1, v0
; %bb.75:
	s_or_b32 exec_lo, exec_lo, s1
	v_mov_b32_e32 v5, v3
	s_mov_b32 s1, exec_lo
	v_cmpx_ge_i32_e64 v29, v3
; %bb.76:
	v_add_nc_u32_e32 v5, 0x4800, v6
	v_add_nc_u32_e32 v2, 1, v2
	ds_load_b32 v5, v5 offset:1028
; %bb.77:
	s_or_b32 exec_lo, exec_lo, s1
	s_wait_dscnt 0x0
	v_dual_mov_b32 v30, v28 :: v_dual_mov_b32 v6, v4
	s_mov_b32 s1, exec_lo
	v_cmpx_ge_i32_e64 v5, v28
; %bb.78:
	v_lshlrev_b32_e32 v6, 2, v4
	ds_load_b32 v30, v6 offset:19460
	v_add_nc_u32_e32 v6, 1, v4
; %bb.79:
	s_or_b32 exec_lo, exec_lo, s1
	v_dual_mov_b32 v7, v5 :: v_dual_mov_b32 v8, v2
	s_mov_b32 s1, exec_lo
	v_cmpx_ge_i32_e64 v28, v5
; %bb.80:
	v_dual_lshlrev_b32 v7, 2, v2 :: v_dual_add_nc_u32 v8, 1, v2
	ds_load_b32 v7, v7 offset:19460
; %bb.81:
	s_or_b32 exec_lo, exec_lo, s1
	s_wait_dscnt 0x0
	v_dual_mov_b32 v31, v30 :: v_dual_mov_b32 v9, v6
	s_mov_b32 s1, exec_lo
	v_cmpx_ge_i32_e64 v7, v30
; %bb.82:
	v_lshlrev_b32_e32 v9, 2, v6
	ds_load_b32 v31, v9 offset:19460
	v_add_nc_u32_e32 v9, 1, v6
; %bb.83:
	s_or_b32 exec_lo, exec_lo, s1
	v_dual_mov_b32 v10, v7 :: v_dual_mov_b32 v12, v8
	s_mov_b32 s1, exec_lo
	v_cmpx_ge_i32_e64 v30, v7
; %bb.84:
	v_dual_lshlrev_b32 v10, 2, v8 :: v_dual_add_nc_u32 v12, 1, v8
	;; [unrolled: 18-line block ×5, first 2 shown]
	ds_load_b32 v44, v35 offset:19460
; %bb.97:
	s_or_b32 exec_lo, exec_lo, s1
	s_wait_dscnt 0x0
	v_dual_mov_b32 v35, v34 :: v_dual_mov_b32 v46, v23
	s_mov_b32 s1, exec_lo
	v_cmpx_ge_i32_e64 v44, v34
; %bb.98:
	v_dual_lshlrev_b32 v35, 2, v23 :: v_dual_add_nc_u32 v46, 1, v23
	ds_load_b32 v35, v35 offset:19460
; %bb.99:
	s_or_b32 exec_lo, exec_lo, s1
	v_dual_mov_b32 v48, v44 :: v_dual_mov_b32 v47, v45
	s_mov_b32 s1, exec_lo
	v_cmpx_ge_i32_e64 v34, v44
; %bb.100:
	v_dual_lshlrev_b32 v36, 2, v45 :: v_dual_add_nc_u32 v47, 1, v45
	ds_load_b32 v48, v36 offset:19460
; %bb.101:
	s_or_b32 exec_lo, exec_lo, s1
	s_wait_dscnt 0x0
	v_dual_mov_b32 v36, v35 :: v_dual_mov_b32 v49, v46
	s_mov_b32 s1, exec_lo
	v_cmpx_ge_i32_e64 v48, v35
; %bb.102:
	v_dual_lshlrev_b32 v36, 2, v46 :: v_dual_add_nc_u32 v49, 1, v46
	ds_load_b32 v36, v36 offset:19460
; %bb.103:
	s_or_b32 exec_lo, exec_lo, s1
	v_dual_mov_b32 v50, v48 :: v_dual_mov_b32 v51, v47
	s_mov_b32 s1, exec_lo
	v_cmpx_ge_i32_e64 v35, v48
; %bb.104:
	v_dual_lshlrev_b32 v37, 2, v47 :: v_dual_add_nc_u32 v51, 1, v47
	;; [unrolled: 17-line block ×8, first 2 shown]
	ds_load_b32 v69, v43 offset:19460
; %bb.129:
	s_or_b32 exec_lo, exec_lo, s1
	s_wait_dscnt 0x0
	v_dual_mov_b32 v43, v42 :: v_dual_mov_b32 v70, v67
	s_mov_b32 s1, exec_lo
	v_cmpx_ge_i32_e64 v69, v42
; %bb.130:
	v_dual_lshlrev_b32 v43, 2, v67 :: v_dual_add_nc_u32 v70, 1, v67
	ds_load_b32 v43, v43 offset:19460
; %bb.131:
	s_or_b32 exec_lo, exec_lo, s1
	v_dual_mov_b32 v72, v69 :: v_dual_mov_b32 v71, v68
	s_mov_b32 s1, exec_lo
	v_cmpx_ge_i32_e64 v42, v69
; %bb.132:
	v_lshlrev_b32_e32 v71, 2, v68
	ds_load_b32 v72, v71 offset:19460
	v_add_nc_u32_e32 v71, 1, v68
; %bb.133:
	s_or_b32 exec_lo, exec_lo, s1
	v_and_b32_e32 v73, 0xffff, v11
	v_ashrrev_i32_e32 v11, 16, v11
	v_cmp_ne_u32_e64 s1, v69, v42
	v_cmp_ne_u32_e64 s17, v44, v34
	;; [unrolled: 1-line block ×3, first 2 shown]
	v_add_nc_u32_e32 v69, s24, v73
	v_cmp_ge_i32_e64 s14, v20, v11
	v_cmp_ge_i32_e64 s18, v9, v11
	;; [unrolled: 1-line block ×3, first 2 shown]
	v_cmp_gt_i32_e64 s22, v73, v1
	v_cmp_ge_i32_e64 s15, v22, v69
	v_cmp_ge_i32_e64 s19, v12, v69
	;; [unrolled: 1-line block ×5, first 2 shown]
	s_or_b32 s39, s14, s15
	v_cmp_ge_i32_e64 s14, v13, v11
	v_cmp_ge_i32_e64 s15, v15, v69
	s_or_b32 s41, s18, s19
	s_or_b32 s25, s20, s21
	v_cmp_ge_i32_e64 s19, v4, v11
	v_cmp_ge_i32_e64 s20, v2, v69
	s_or_b32 s40, s14, s15
	v_cmp_ne_u32_e64 s15, v7, v30
	v_cmp_gt_i32_e64 s21, v11, v0
	v_cmp_ne_u32_e64 s18, v5, v28
	s_or_b32 s19, s19, s20
	v_cmp_ge_i32_e64 s4, v67, v11
	s_or_b32 s25, s15, s25
	v_cmp_eq_u32_e64 s15, v3, v29
	s_and_b32 s20, s21, s22
	v_cmp_ge_i32_e64 s5, v64, v11
	v_cmp_ge_i32_e64 s7, v68, v69
	;; [unrolled: 1-line block ×5, first 2 shown]
	s_or_b32 s38, s12, s13
	v_cmp_ne_u32_e64 s13, v14, v32
	v_cmp_ne_u32_e64 s14, v10, v31
	s_or_b32 s18, s18, s19
	s_and_b32 s15, s20, s15
	v_cndmask_b32_e64 v0, 4, 0, s25
	v_cndmask_b32_e64 v1, 2, 0, s18
	;; [unrolled: 1-line block ×3, first 2 shown]
	v_cmp_ge_i32_e64 s3, v70, v11
	v_cmp_ge_i32_e64 s6, v71, v69
	s_or_b32 s31, s4, s7
	s_or_b32 s33, s5, s8
	;; [unrolled: 1-line block ×3, first 2 shown]
	v_cmp_ge_i32_e64 s7, v55, v11
	v_cmp_ge_i32_e64 s8, v57, v69
	;; [unrolled: 1-line block ×4, first 2 shown]
	v_cmp_ne_u32_e64 s12, v21, v33
	s_or_b32 s13, s13, s40
	s_or_b32 s14, s14, s41
	v_cndmask_b32_e64 v3, 16, 0, s13
	v_cndmask_b32_e64 v4, 8, 0, s14
	v_or3_b32 v0, v1, v2, v0
	s_or_b32 s30, s3, s6
	v_cmp_ge_i32_e64 s5, v58, v11
	v_cmp_ge_i32_e64 s6, v60, v69
	v_cmp_ge_i32_e64 s11, v46, v11
	v_cmp_ge_i32_e64 s16, v47, v69
	s_or_b32 s36, s7, s8
	s_or_b32 s37, s9, s10
	v_cmp_ge_i32_e64 s8, v49, v11
	v_cmp_ge_i32_e64 s9, v51, v69
	v_cmp_ne_u32_e64 s10, v48, v35
	s_or_b32 s17, s17, s38
	s_or_b32 s12, s12, s39
	v_cndmask_b32_e64 v1, 64, 0, s17
	v_cndmask_b32_e64 v2, 32, 0, s12
	v_or3_b32 v0, v0, v4, v3
	s_or_b32 s35, s5, s6
	v_cmp_ne_u32_e64 s6, v53, v37
	s_or_b32 s11, s11, s16
	v_cmp_ne_u32_e64 s7, v50, v36
	s_or_b32 s8, s8, s9
	s_or_b32 s9, s10, s11
	v_or3_b32 v49, v0, v2, v1
	v_cndmask_b32_e64 v3, 0x80, 0, s9
	v_cmp_ne_u32_e64 s4, v59, v39
	s_or_b32 s6, s6, s37
	v_cmp_ne_u32_e64 s5, v56, v38
	v_cndmask_b32_e64 v0, 0x200, 0, s6
	s_or_b32 s6, s7, s8
	v_dual_mov_b32 v9, 0 :: v_dual_bitop2_b32 v48, v3, v49 bitop3:0x54
	v_cndmask_b32_e64 v1, 0x100, 0, s6
	s_or_b32 s4, s4, s35
	v_cmp_ne_u32_e64 s3, v62, v40
	v_cndmask_b32_e64 v2, 0x800, 0, s4
	s_or_b32 s4, s5, s36
	v_or3_b32 v47, v1, v0, v48
	v_cndmask_b32_e64 v3, 0x400, 0, s4
	s_or_b32 s2, s2, s33
	s_wait_dscnt 0x0
	v_cmp_ne_u32_e32 vcc_lo, v72, v43
	v_cndmask_b32_e64 v0, 0x2000, 0, s2
	s_or_b32 s2, s3, s34
	v_or3_b32 v46, v3, v2, v47
	v_cndmask_b32_e64 v1, 0x1000, 0, s2
	s_or_b32 s2, vcc_lo, s30
	s_or_b32 s1, s1, s31
	v_cndmask_b32_e64 v2, 0x8000, 0, s2
	v_cndmask_b32_e64 v3, 0x4000, 0, s1
	v_or3_b32 v45, v1, v0, v46
	s_mov_b32 s1, -1
	s_cmp_lg_u32 s23, 0
	s_barrier_signal -1
	s_delay_alu instid0(VALU_DEP_1) | instskip(SKIP_1) | instid1(VALU_DEP_1)
	v_or3_b32 v44, v3, v2, v45
	s_barrier_wait -1
	v_bcnt_u32_b32 v8, v44, 0
	s_cbranch_scc0 .LBB29_190
; %bb.134:
	v_mbcnt_lo_u32_b32 v50, -1, 0
	s_delay_alu instid0(VALU_DEP_2) | instskip(SKIP_2) | instid1(VALU_DEP_4)
	v_mov_b64_e32 v[2:3], v[8:9]
	v_mov_b32_dpp v4, v8 row_shr:1 row_mask:0xf bank_mask:0xf
	v_mov_b32_dpp v7, v9 row_shr:1 row_mask:0xf bank_mask:0xf
	v_dual_mov_b32 v5, v9 :: v_dual_bitop2_b32 v10, 15, v50 bitop3:0x40
	v_mov_b32_e32 v0, v8
	s_mov_b32 s1, exec_lo
	s_delay_alu instid0(VALU_DEP_2)
	v_cmpx_ne_u32_e32 0, v10
; %bb.135:
	v_mov_b32_e32 v6, 0
	s_delay_alu instid0(VALU_DEP_1) | instskip(NEXT) | instid1(VALU_DEP_1)
	v_mov_b32_e32 v5, v6
	v_add_nc_u64_e32 v[0:1], v[4:5], v[8:9]
	s_delay_alu instid0(VALU_DEP_1) | instskip(NEXT) | instid1(VALU_DEP_1)
	v_add_nc_u64_e32 v[4:5], v[6:7], v[0:1]
	v_mov_b64_e32 v[2:3], v[4:5]
; %bb.136:
	s_or_b32 exec_lo, exec_lo, s1
	v_mov_b32_dpp v4, v0 row_shr:2 row_mask:0xf bank_mask:0xf
	v_mov_b32_dpp v7, v5 row_shr:2 row_mask:0xf bank_mask:0xf
	s_mov_b32 s1, exec_lo
	v_cmpx_lt_u32_e32 1, v10
; %bb.137:
	v_mov_b32_e32 v6, 0
	s_delay_alu instid0(VALU_DEP_1) | instskip(NEXT) | instid1(VALU_DEP_1)
	v_mov_b32_e32 v5, v6
	v_add_nc_u64_e32 v[0:1], v[2:3], v[4:5]
	s_delay_alu instid0(VALU_DEP_1) | instskip(NEXT) | instid1(VALU_DEP_1)
	v_add_nc_u64_e32 v[4:5], v[6:7], v[0:1]
	v_mov_b64_e32 v[2:3], v[4:5]
; %bb.138:
	s_or_b32 exec_lo, exec_lo, s1
	v_mov_b32_dpp v4, v0 row_shr:4 row_mask:0xf bank_mask:0xf
	v_mov_b32_dpp v7, v5 row_shr:4 row_mask:0xf bank_mask:0xf
	s_mov_b32 s1, exec_lo
	v_cmpx_lt_u32_e32 3, v10
; %bb.139:
	v_mov_b32_e32 v6, 0
	s_delay_alu instid0(VALU_DEP_1) | instskip(NEXT) | instid1(VALU_DEP_1)
	v_mov_b32_e32 v5, v6
	v_add_nc_u64_e32 v[0:1], v[2:3], v[4:5]
	s_delay_alu instid0(VALU_DEP_1) | instskip(NEXT) | instid1(VALU_DEP_1)
	v_add_nc_u64_e32 v[4:5], v[6:7], v[0:1]
	v_mov_b64_e32 v[2:3], v[4:5]
; %bb.140:
	s_or_b32 exec_lo, exec_lo, s1
	v_mov_b32_dpp v4, v0 row_shr:8 row_mask:0xf bank_mask:0xf
	v_mov_b32_dpp v7, v5 row_shr:8 row_mask:0xf bank_mask:0xf
	s_mov_b32 s1, exec_lo
	v_cmpx_lt_u32_e32 7, v10
; %bb.141:
	v_mov_b32_e32 v6, 0
	s_delay_alu instid0(VALU_DEP_1) | instskip(NEXT) | instid1(VALU_DEP_1)
	v_mov_b32_e32 v5, v6
	v_add_nc_u64_e32 v[0:1], v[2:3], v[4:5]
	s_delay_alu instid0(VALU_DEP_1) | instskip(NEXT) | instid1(VALU_DEP_1)
	v_add_nc_u64_e32 v[2:3], v[6:7], v[0:1]
	v_mov_b32_e32 v5, v3
; %bb.142:
	s_or_b32 exec_lo, exec_lo, s1
	ds_swizzle_b32 v4, v0 offset:swizzle(BROADCAST,32,15)
	ds_swizzle_b32 v7, v5 offset:swizzle(BROADCAST,32,15)
	v_and_b32_e32 v1, 16, v50
	s_mov_b32 s1, exec_lo
	s_delay_alu instid0(VALU_DEP_1)
	v_cmpx_ne_u32_e32 0, v1
	s_cbranch_execz .LBB29_144
; %bb.143:
	v_mov_b32_e32 v6, 0
	s_delay_alu instid0(VALU_DEP_1) | instskip(SKIP_1) | instid1(VALU_DEP_1)
	v_mov_b32_e32 v5, v6
	s_wait_dscnt 0x1
	v_add_nc_u64_e32 v[0:1], v[2:3], v[4:5]
	s_wait_dscnt 0x0
	s_delay_alu instid0(VALU_DEP_1)
	v_add_nc_u64_e32 v[2:3], v[6:7], v[0:1]
.LBB29_144:
	s_or_b32 exec_lo, exec_lo, s1
	v_and_b32_e32 v1, 0x3e0, v24
	s_wait_dscnt 0x1
	v_lshrrev_b32_e32 v4, 5, v24
	s_delay_alu instid0(VALU_DEP_2) | instskip(NEXT) | instid1(VALU_DEP_1)
	v_min_u32_e32 v1, 0xe0, v1
	v_or_b32_e32 v1, 31, v1
	s_delay_alu instid0(VALU_DEP_1) | instskip(NEXT) | instid1(VALU_DEP_4)
	v_cmp_eq_u32_e32 vcc_lo, v24, v1
	v_lshlrev_b32_e32 v1, 3, v4
	s_and_saveexec_b32 s1, vcc_lo
; %bb.145:
	ds_store_b64 v1, v[2:3] offset:18432
; %bb.146:
	s_or_b32 exec_lo, exec_lo, s1
	s_delay_alu instid0(SALU_CYCLE_1)
	s_mov_b32 s1, exec_lo
	s_wait_dscnt 0x0
	s_barrier_signal -1
	s_barrier_wait -1
	v_cmpx_gt_u32_e32 8, v24
	s_cbranch_execz .LBB29_154
; %bb.147:
	v_dual_lshlrev_b32 v13, 3, v24 :: v_dual_bitop2_b32 v12, 7, v50 bitop3:0x40
	s_mov_b32 s2, exec_lo
	ds_load_b64 v[2:3], v13 offset:18432
	s_wait_dscnt 0x0
	v_mov_b32_dpp v6, v2 row_shr:1 row_mask:0xf bank_mask:0xf
	v_mov_b32_dpp v11, v3 row_shr:1 row_mask:0xf bank_mask:0xf
	v_mov_b32_e32 v4, v2
	v_cmpx_ne_u32_e32 0, v12
; %bb.148:
	v_mov_b32_e32 v10, 0
	s_delay_alu instid0(VALU_DEP_1) | instskip(NEXT) | instid1(VALU_DEP_1)
	v_mov_b32_e32 v7, v10
	v_add_nc_u64_e32 v[4:5], v[2:3], v[6:7]
	s_delay_alu instid0(VALU_DEP_1)
	v_add_nc_u64_e32 v[2:3], v[10:11], v[4:5]
; %bb.149:
	s_or_b32 exec_lo, exec_lo, s2
	v_mov_b32_dpp v6, v4 row_shr:2 row_mask:0xf bank_mask:0xf
	s_delay_alu instid0(VALU_DEP_2)
	v_mov_b32_dpp v11, v3 row_shr:2 row_mask:0xf bank_mask:0xf
	s_mov_b32 s2, exec_lo
	v_cmpx_lt_u32_e32 1, v12
; %bb.150:
	v_mov_b32_e32 v10, 0
	s_delay_alu instid0(VALU_DEP_1) | instskip(NEXT) | instid1(VALU_DEP_1)
	v_mov_b32_e32 v7, v10
	v_add_nc_u64_e32 v[4:5], v[2:3], v[6:7]
	s_delay_alu instid0(VALU_DEP_1)
	v_add_nc_u64_e32 v[2:3], v[10:11], v[4:5]
; %bb.151:
	s_or_b32 exec_lo, exec_lo, s2
	v_add_nc_u32_e32 v10, 0x4800, v13
	v_mov_b32_dpp v4, v4 row_shr:4 row_mask:0xf bank_mask:0xf
	s_delay_alu instid0(VALU_DEP_3)
	v_mov_b32_dpp v7, v3 row_shr:4 row_mask:0xf bank_mask:0xf
	s_mov_b32 s2, exec_lo
	v_cmpx_lt_u32_e32 3, v12
; %bb.152:
	v_mov_b32_e32 v6, 0
	s_delay_alu instid0(VALU_DEP_1) | instskip(NEXT) | instid1(VALU_DEP_1)
	v_mov_b32_e32 v5, v6
	v_add_nc_u64_e32 v[2:3], v[2:3], v[4:5]
	s_delay_alu instid0(VALU_DEP_1)
	v_add_nc_u64_e32 v[2:3], v[2:3], v[6:7]
; %bb.153:
	s_or_b32 exec_lo, exec_lo, s2
	ds_store_b64 v10, v[2:3]
.LBB29_154:
	s_or_b32 exec_lo, exec_lo, s1
	s_delay_alu instid0(SALU_CYCLE_1)
	s_mov_b32 s2, exec_lo
	v_cmp_gt_u32_e32 vcc_lo, 32, v24
	s_wait_dscnt 0x0
	s_barrier_signal -1
	s_barrier_wait -1
                                        ; implicit-def: $vgpr10_vgpr11
	v_cmpx_lt_u32_e32 31, v24
	s_cbranch_execz .LBB29_156
; %bb.155:
	ds_load_b64 v[10:11], v1 offset:18424
	s_wait_dscnt 0x0
	v_add_nc_u32_e32 v0, v0, v10
.LBB29_156:
	s_or_b32 exec_lo, exec_lo, s2
	v_sub_co_u32 v1, s1, v50, 1
	s_delay_alu instid0(VALU_DEP_1) | instskip(NEXT) | instid1(VALU_DEP_1)
	v_cmp_gt_i32_e64 s2, 0, v1
	v_cndmask_b32_e64 v1, v1, v50, s2
	s_delay_alu instid0(VALU_DEP_1)
	v_lshlrev_b32_e32 v1, 2, v1
	ds_bpermute_b32 v51, v1, v0
	s_and_saveexec_b32 s2, vcc_lo
	s_cbranch_execz .LBB29_195
; %bb.157:
	v_mov_b32_e32 v3, 0
	ds_load_b64 v[0:1], v3 offset:18488
	s_and_saveexec_b32 s3, s1
	s_cbranch_execz .LBB29_159
; %bb.158:
	s_add_co_i32 s4, s23, 32
	s_mov_b32 s5, 0
	v_mov_b32_e32 v2, 1
	s_lshl_b64 s[4:5], s[4:5], 4
	s_delay_alu instid0(SALU_CYCLE_1) | instskip(NEXT) | instid1(SALU_CYCLE_1)
	s_add_nc_u64 s[4:5], s[28:29], s[4:5]
	v_mov_b64_e32 v[4:5], s[4:5]
	s_wait_dscnt 0x0
	;;#ASMSTART
	global_store_b128 v[4:5], v[0:3] off scope:SCOPE_DEV	
s_wait_storecnt 0x0
	;;#ASMEND
.LBB29_159:
	s_or_b32 exec_lo, exec_lo, s3
	v_xad_u32 v12, v50, -1, s23
	s_mov_b32 s4, 0
	s_mov_b32 s3, exec_lo
	s_delay_alu instid0(VALU_DEP_1) | instskip(NEXT) | instid1(VALU_DEP_1)
	v_add_nc_u32_e32 v2, 32, v12
	v_lshl_add_u64 v[2:3], v[2:3], 4, s[28:29]
	;;#ASMSTART
	global_load_b128 v[4:7], v[2:3] off scope:SCOPE_DEV	
s_wait_loadcnt 0x0
	;;#ASMEND
	v_and_b32_e32 v7, 0xff, v6
	s_delay_alu instid0(VALU_DEP_1)
	v_cmpx_eq_u16_e32 0, v7
	s_cbranch_execz .LBB29_162
.LBB29_160:                             ; =>This Inner Loop Header: Depth=1
	;;#ASMSTART
	global_load_b128 v[4:7], v[2:3] off scope:SCOPE_DEV	
s_wait_loadcnt 0x0
	;;#ASMEND
	v_and_b32_e32 v7, 0xff, v6
	s_delay_alu instid0(VALU_DEP_1) | instskip(SKIP_1) | instid1(SALU_CYCLE_1)
	v_cmp_ne_u16_e32 vcc_lo, 0, v7
	s_or_b32 s4, vcc_lo, s4
	s_and_not1_b32 exec_lo, exec_lo, s4
	s_cbranch_execnz .LBB29_160
; %bb.161:
	s_or_b32 exec_lo, exec_lo, s4
.LBB29_162:
	s_delay_alu instid0(SALU_CYCLE_1)
	s_or_b32 exec_lo, exec_lo, s3
	v_cmp_ne_u32_e32 vcc_lo, 31, v50
	v_and_b32_e32 v3, 0xff, v6
	v_lshlrev_b32_e64 v53, v50, -1
	s_mov_b32 s3, exec_lo
	v_add_co_ci_u32_e64 v2, null, 0, v50, vcc_lo
	s_delay_alu instid0(VALU_DEP_3) | instskip(NEXT) | instid1(VALU_DEP_2)
	v_cmp_eq_u16_e32 vcc_lo, 2, v3
	v_lshlrev_b32_e32 v52, 2, v2
	v_and_or_b32 v2, vcc_lo, v53, 0x80000000
	s_delay_alu instid0(VALU_DEP_1)
	v_ctz_i32_b32_e32 v7, v2
	v_mov_b32_e32 v2, v4
	ds_bpermute_b32 v14, v52, v4
	ds_bpermute_b32 v21, v52, v5
	v_cmpx_lt_u32_e64 v50, v7
	s_cbranch_execz .LBB29_164
; %bb.163:
	v_mov_b32_e32 v20, 0
	s_delay_alu instid0(VALU_DEP_1) | instskip(SKIP_1) | instid1(VALU_DEP_1)
	v_mov_b32_e32 v15, v20
	s_wait_dscnt 0x1
	v_add_nc_u64_e32 v[2:3], v[4:5], v[14:15]
	s_wait_dscnt 0x0
	s_delay_alu instid0(VALU_DEP_1)
	v_add_nc_u64_e32 v[4:5], v[20:21], v[2:3]
.LBB29_164:
	s_or_b32 exec_lo, exec_lo, s3
	v_cmp_gt_u32_e32 vcc_lo, 30, v50
	v_add_nc_u32_e32 v55, 2, v50
	s_mov_b32 s3, exec_lo
	v_cndmask_b32_e64 v3, 0, 2, vcc_lo
	s_delay_alu instid0(VALU_DEP_1)
	v_add_lshl_u32 v54, v3, v50, 2
	s_wait_dscnt 0x1
	ds_bpermute_b32 v14, v54, v2
	s_wait_dscnt 0x1
	ds_bpermute_b32 v21, v54, v5
	v_cmpx_le_u32_e64 v55, v7
	s_cbranch_execz .LBB29_166
; %bb.165:
	v_mov_b32_e32 v20, 0
	s_delay_alu instid0(VALU_DEP_1) | instskip(SKIP_1) | instid1(VALU_DEP_1)
	v_mov_b32_e32 v15, v20
	s_wait_dscnt 0x1
	v_add_nc_u64_e32 v[2:3], v[4:5], v[14:15]
	s_wait_dscnt 0x0
	s_delay_alu instid0(VALU_DEP_1)
	v_add_nc_u64_e32 v[4:5], v[20:21], v[2:3]
.LBB29_166:
	s_or_b32 exec_lo, exec_lo, s3
	v_cmp_gt_u32_e32 vcc_lo, 28, v50
	v_add_nc_u32_e32 v57, 4, v50
	s_mov_b32 s3, exec_lo
	v_cndmask_b32_e64 v3, 0, 4, vcc_lo
	s_delay_alu instid0(VALU_DEP_1)
	v_add_lshl_u32 v56, v3, v50, 2
	s_wait_dscnt 0x1
	ds_bpermute_b32 v14, v56, v2
	s_wait_dscnt 0x1
	ds_bpermute_b32 v21, v56, v5
	v_cmpx_le_u32_e64 v57, v7
	;; [unrolled: 23-line block ×3, first 2 shown]
	s_cbranch_execz .LBB29_170
; %bb.169:
	v_mov_b32_e32 v20, 0
	s_delay_alu instid0(VALU_DEP_1) | instskip(SKIP_1) | instid1(VALU_DEP_1)
	v_mov_b32_e32 v15, v20
	s_wait_dscnt 0x1
	v_add_nc_u64_e32 v[2:3], v[4:5], v[14:15]
	s_wait_dscnt 0x0
	s_delay_alu instid0(VALU_DEP_1)
	v_add_nc_u64_e32 v[4:5], v[20:21], v[2:3]
.LBB29_170:
	s_or_b32 exec_lo, exec_lo, s3
	v_lshl_or_b32 v60, v50, 2, 64
	v_add_nc_u32_e32 v61, 16, v50
	s_mov_b32 s3, exec_lo
	ds_bpermute_b32 v2, v60, v2
	ds_bpermute_b32 v15, v60, v5
	v_cmpx_le_u32_e64 v61, v7
	s_cbranch_execz .LBB29_172
; %bb.171:
	s_wait_dscnt 0x3
	v_mov_b32_e32 v14, 0
	s_delay_alu instid0(VALU_DEP_1) | instskip(SKIP_1) | instid1(VALU_DEP_1)
	v_mov_b32_e32 v3, v14
	s_wait_dscnt 0x1
	v_add_nc_u64_e32 v[2:3], v[4:5], v[2:3]
	s_wait_dscnt 0x0
	s_delay_alu instid0(VALU_DEP_1)
	v_add_nc_u64_e32 v[4:5], v[2:3], v[14:15]
.LBB29_172:
	s_or_b32 exec_lo, exec_lo, s3
	v_mov_b32_e32 v13, 0
	s_branch .LBB29_175
.LBB29_173:                             ;   in Loop: Header=BB29_175 Depth=1
	s_or_b32 exec_lo, exec_lo, s3
	s_delay_alu instid0(VALU_DEP_1)
	v_add_nc_u64_e32 v[4:5], v[4:5], v[2:3]
	v_subrev_nc_u32_e32 v12, 32, v12
	s_mov_b32 s3, 0
.LBB29_174:                             ;   in Loop: Header=BB29_175 Depth=1
	s_delay_alu instid0(SALU_CYCLE_1)
	s_and_b32 vcc_lo, exec_lo, s3
	s_cbranch_vccnz .LBB29_191
.LBB29_175:                             ; =>This Loop Header: Depth=1
                                        ;     Child Loop BB29_178 Depth 2
	s_wait_dscnt 0x1
	v_and_b32_e32 v2, 0xff, v6
	s_mov_b32 s3, -1
	s_delay_alu instid0(VALU_DEP_1)
	v_cmp_ne_u16_e32 vcc_lo, 2, v2
	v_mov_b64_e32 v[2:3], v[4:5]
                                        ; implicit-def: $vgpr4_vgpr5
	s_cmp_lg_u32 vcc_lo, exec_lo
	s_cbranch_scc1 .LBB29_174
; %bb.176:                              ;   in Loop: Header=BB29_175 Depth=1
	s_wait_dscnt 0x0
	v_lshl_add_u64 v[14:15], v[12:13], 4, s[28:29]
	;;#ASMSTART
	global_load_b128 v[4:7], v[14:15] off scope:SCOPE_DEV	
s_wait_loadcnt 0x0
	;;#ASMEND
	v_and_b32_e32 v7, 0xff, v6
	s_mov_b32 s3, exec_lo
	s_delay_alu instid0(VALU_DEP_1)
	v_cmpx_eq_u16_e32 0, v7
	s_cbranch_execz .LBB29_180
; %bb.177:                              ;   in Loop: Header=BB29_175 Depth=1
	s_mov_b32 s4, 0
.LBB29_178:                             ;   Parent Loop BB29_175 Depth=1
                                        ; =>  This Inner Loop Header: Depth=2
	;;#ASMSTART
	global_load_b128 v[4:7], v[14:15] off scope:SCOPE_DEV	
s_wait_loadcnt 0x0
	;;#ASMEND
	v_and_b32_e32 v7, 0xff, v6
	s_delay_alu instid0(VALU_DEP_1) | instskip(SKIP_1) | instid1(SALU_CYCLE_1)
	v_cmp_ne_u16_e32 vcc_lo, 0, v7
	s_or_b32 s4, vcc_lo, s4
	s_and_not1_b32 exec_lo, exec_lo, s4
	s_cbranch_execnz .LBB29_178
; %bb.179:                              ;   in Loop: Header=BB29_175 Depth=1
	s_or_b32 exec_lo, exec_lo, s4
.LBB29_180:                             ;   in Loop: Header=BB29_175 Depth=1
	s_delay_alu instid0(SALU_CYCLE_1)
	s_or_b32 exec_lo, exec_lo, s3
	v_and_b32_e32 v7, 0xff, v6
	ds_bpermute_b32 v20, v52, v4
	ds_bpermute_b32 v23, v52, v5
	v_mov_b32_e32 v14, v4
	s_mov_b32 s3, exec_lo
	v_cmp_eq_u16_e32 vcc_lo, 2, v7
	v_and_or_b32 v7, vcc_lo, v53, 0x80000000
	s_delay_alu instid0(VALU_DEP_1) | instskip(NEXT) | instid1(VALU_DEP_1)
	v_ctz_i32_b32_e32 v7, v7
	v_cmpx_lt_u32_e64 v50, v7
	s_cbranch_execz .LBB29_182
; %bb.181:                              ;   in Loop: Header=BB29_175 Depth=1
	v_dual_mov_b32 v21, v13 :: v_dual_mov_b32 v22, v13
	s_wait_dscnt 0x1
	s_delay_alu instid0(VALU_DEP_1) | instskip(SKIP_1) | instid1(VALU_DEP_1)
	v_add_nc_u64_e32 v[14:15], v[4:5], v[20:21]
	s_wait_dscnt 0x0
	v_add_nc_u64_e32 v[4:5], v[22:23], v[14:15]
.LBB29_182:                             ;   in Loop: Header=BB29_175 Depth=1
	s_or_b32 exec_lo, exec_lo, s3
	ds_bpermute_b32 v22, v54, v14
	ds_bpermute_b32 v21, v54, v5
	s_mov_b32 s3, exec_lo
	v_cmpx_le_u32_e64 v55, v7
	s_cbranch_execz .LBB29_184
; %bb.183:                              ;   in Loop: Header=BB29_175 Depth=1
	s_wait_dscnt 0x2
	v_dual_mov_b32 v23, v13 :: v_dual_mov_b32 v20, v13
	s_wait_dscnt 0x1
	s_delay_alu instid0(VALU_DEP_1) | instskip(SKIP_1) | instid1(VALU_DEP_1)
	v_add_nc_u64_e32 v[14:15], v[4:5], v[22:23]
	s_wait_dscnt 0x0
	v_add_nc_u64_e32 v[4:5], v[20:21], v[14:15]
.LBB29_184:                             ;   in Loop: Header=BB29_175 Depth=1
	s_or_b32 exec_lo, exec_lo, s3
	s_wait_dscnt 0x1
	ds_bpermute_b32 v22, v56, v14
	s_wait_dscnt 0x1
	ds_bpermute_b32 v21, v56, v5
	s_mov_b32 s3, exec_lo
	v_cmpx_le_u32_e64 v57, v7
	s_cbranch_execz .LBB29_186
; %bb.185:                              ;   in Loop: Header=BB29_175 Depth=1
	v_dual_mov_b32 v23, v13 :: v_dual_mov_b32 v20, v13
	s_wait_dscnt 0x1
	s_delay_alu instid0(VALU_DEP_1) | instskip(SKIP_1) | instid1(VALU_DEP_1)
	v_add_nc_u64_e32 v[14:15], v[4:5], v[22:23]
	s_wait_dscnt 0x0
	v_add_nc_u64_e32 v[4:5], v[20:21], v[14:15]
.LBB29_186:                             ;   in Loop: Header=BB29_175 Depth=1
	s_or_b32 exec_lo, exec_lo, s3
	s_wait_dscnt 0x1
	ds_bpermute_b32 v22, v58, v14
	s_wait_dscnt 0x1
	ds_bpermute_b32 v21, v58, v5
	s_mov_b32 s3, exec_lo
	v_cmpx_le_u32_e64 v59, v7
	s_cbranch_execz .LBB29_188
; %bb.187:                              ;   in Loop: Header=BB29_175 Depth=1
	v_dual_mov_b32 v23, v13 :: v_dual_mov_b32 v20, v13
	s_wait_dscnt 0x1
	s_delay_alu instid0(VALU_DEP_1) | instskip(SKIP_1) | instid1(VALU_DEP_1)
	v_add_nc_u64_e32 v[14:15], v[4:5], v[22:23]
	s_wait_dscnt 0x0
	v_add_nc_u64_e32 v[4:5], v[20:21], v[14:15]
.LBB29_188:                             ;   in Loop: Header=BB29_175 Depth=1
	s_or_b32 exec_lo, exec_lo, s3
	ds_bpermute_b32 v20, v60, v14
	ds_bpermute_b32 v15, v60, v5
	s_mov_b32 s3, exec_lo
	v_cmpx_le_u32_e64 v61, v7
	s_cbranch_execz .LBB29_173
; %bb.189:                              ;   in Loop: Header=BB29_175 Depth=1
	s_wait_dscnt 0x2
	v_dual_mov_b32 v21, v13 :: v_dual_mov_b32 v14, v13
	s_wait_dscnt 0x1
	s_delay_alu instid0(VALU_DEP_1) | instskip(SKIP_1) | instid1(VALU_DEP_1)
	v_add_nc_u64_e32 v[4:5], v[4:5], v[20:21]
	s_wait_dscnt 0x0
	v_add_nc_u64_e32 v[4:5], v[4:5], v[14:15]
	s_branch .LBB29_173
.LBB29_190:
                                        ; implicit-def: $vgpr0_vgpr1
                                        ; implicit-def: $vgpr4_vgpr5
	s_and_b32 vcc_lo, exec_lo, s1
	s_movk_i32 s6, 0x4840
	s_cbranch_vccnz .LBB29_196
	s_branch .LBB29_219
.LBB29_191:
	s_and_saveexec_b32 s3, s1
	s_cbranch_execz .LBB29_193
; %bb.192:
	s_add_co_i32 s4, s23, 32
	s_mov_b32 s5, 0
	v_dual_mov_b32 v6, 2 :: v_dual_mov_b32 v7, 0
	s_lshl_b64 s[4:5], s[4:5], 4
	v_add_nc_u64_e32 v[4:5], v[2:3], v[0:1]
	s_add_nc_u64 s[4:5], s[28:29], s[4:5]
	s_delay_alu instid0(SALU_CYCLE_1)
	v_mov_b64_e32 v[12:13], s[4:5]
	;;#ASMSTART
	global_store_b128 v[12:13], v[4:7] off scope:SCOPE_DEV	
s_wait_storecnt 0x0
	;;#ASMEND
	ds_store_b128 v7, v[0:3] offset:18496
.LBB29_193:
	s_or_b32 exec_lo, exec_lo, s3
	s_delay_alu instid0(SALU_CYCLE_1)
	s_and_b32 exec_lo, exec_lo, s0
; %bb.194:
	v_mov_b32_e32 v0, 0
	ds_store_b64 v0, v[2:3] offset:18488
.LBB29_195:
	s_or_b32 exec_lo, exec_lo, s2
	v_dual_mov_b32 v0, 0 :: v_dual_cndmask_b32 v4, 0, v11, s1
	s_wait_dscnt 0x0
	s_barrier_signal -1
	s_barrier_wait -1
	ds_load_b64 v[2:3], v0 offset:18488
	s_wait_dscnt 0x0
	s_barrier_signal -1
	s_barrier_wait -1
	ds_load_b64 v[0:1], v0 offset:18504
	v_cndmask_b32_e64 v6, v51, v10, s1
	v_cndmask_b32_e64 v5, v4, 0, s0
	s_delay_alu instid0(VALU_DEP_2) | instskip(NEXT) | instid1(VALU_DEP_1)
	v_cndmask_b32_e64 v4, v6, 0, s0
	v_add_nc_u64_e32 v[4:5], v[2:3], v[4:5]
	s_movk_i32 s6, 0x4840
	s_branch .LBB29_219
.LBB29_196:
	v_mbcnt_lo_u32_b32 v10, -1, 0
	v_mov_b32_e32 v3, 0
	s_wait_dscnt 0x0
	v_mov_b64_e32 v[0:1], v[8:9]
	v_mov_b32_dpp v2, v8 row_shr:1 row_mask:0xf bank_mask:0xf
	s_mov_b32 s1, exec_lo
	v_and_b32_e32 v6, 15, v10
	v_mov_b32_dpp v5, v3 row_shr:1 row_mask:0xf bank_mask:0xf
	s_delay_alu instid0(VALU_DEP_2)
	v_cmpx_ne_u32_e32 0, v6
; %bb.197:
	v_mov_b32_e32 v4, 0
	s_delay_alu instid0(VALU_DEP_1) | instskip(NEXT) | instid1(VALU_DEP_1)
	v_mov_b32_e32 v3, v4
	v_add_nc_u64_e32 v[8:9], v[2:3], v[8:9]
	s_delay_alu instid0(VALU_DEP_1) | instskip(NEXT) | instid1(VALU_DEP_1)
	v_add_nc_u64_e32 v[2:3], v[4:5], v[8:9]
	v_mov_b64_e32 v[0:1], v[2:3]
; %bb.198:
	s_or_b32 exec_lo, exec_lo, s1
	v_mov_b32_dpp v2, v8 row_shr:2 row_mask:0xf bank_mask:0xf
	v_mov_b32_dpp v5, v3 row_shr:2 row_mask:0xf bank_mask:0xf
	s_mov_b32 s1, exec_lo
	v_cmpx_lt_u32_e32 1, v6
; %bb.199:
	v_mov_b32_e32 v4, 0
	s_delay_alu instid0(VALU_DEP_1) | instskip(NEXT) | instid1(VALU_DEP_1)
	v_mov_b32_e32 v3, v4
	v_add_nc_u64_e32 v[8:9], v[0:1], v[2:3]
	s_delay_alu instid0(VALU_DEP_1) | instskip(NEXT) | instid1(VALU_DEP_1)
	v_add_nc_u64_e32 v[2:3], v[4:5], v[8:9]
	v_mov_b64_e32 v[0:1], v[2:3]
; %bb.200:
	s_or_b32 exec_lo, exec_lo, s1
	v_mov_b32_dpp v2, v8 row_shr:4 row_mask:0xf bank_mask:0xf
	v_mov_b32_dpp v5, v3 row_shr:4 row_mask:0xf bank_mask:0xf
	s_mov_b32 s1, exec_lo
	v_cmpx_lt_u32_e32 3, v6
	;; [unrolled: 14-line block ×3, first 2 shown]
; %bb.203:
	v_mov_b32_e32 v4, 0
	s_delay_alu instid0(VALU_DEP_1) | instskip(NEXT) | instid1(VALU_DEP_1)
	v_mov_b32_e32 v3, v4
	v_add_nc_u64_e32 v[8:9], v[0:1], v[2:3]
	s_delay_alu instid0(VALU_DEP_1) | instskip(NEXT) | instid1(VALU_DEP_1)
	v_add_nc_u64_e32 v[0:1], v[4:5], v[8:9]
	v_mov_b32_e32 v3, v1
; %bb.204:
	s_or_b32 exec_lo, exec_lo, s1
	ds_swizzle_b32 v2, v8 offset:swizzle(BROADCAST,32,15)
	ds_swizzle_b32 v5, v3 offset:swizzle(BROADCAST,32,15)
	v_and_b32_e32 v3, 16, v10
	s_mov_b32 s1, exec_lo
	s_delay_alu instid0(VALU_DEP_1)
	v_cmpx_ne_u32_e32 0, v3
	s_cbranch_execz .LBB29_206
; %bb.205:
	v_mov_b32_e32 v4, 0
	s_delay_alu instid0(VALU_DEP_1) | instskip(SKIP_1) | instid1(VALU_DEP_1)
	v_mov_b32_e32 v3, v4
	s_wait_dscnt 0x1
	v_add_nc_u64_e32 v[8:9], v[0:1], v[2:3]
	s_wait_dscnt 0x0
	s_delay_alu instid0(VALU_DEP_1)
	v_add_nc_u64_e32 v[0:1], v[4:5], v[8:9]
.LBB29_206:
	s_or_b32 exec_lo, exec_lo, s1
	s_wait_dscnt 0x1
	v_and_b32_e32 v2, 0x3e0, v24
	s_mov_b32 s1, exec_lo
	v_lshrrev_b32_e32 v3, 5, v24
	s_delay_alu instid0(VALU_DEP_2) | instskip(NEXT) | instid1(VALU_DEP_1)
	v_min_u32_e32 v2, 0xe0, v2
	v_dual_lshlrev_b32 v9, 3, v3 :: v_dual_bitop2_b32 v2, 31, v2 bitop3:0x54
	s_delay_alu instid0(VALU_DEP_1)
	v_cmpx_eq_u32_e64 v24, v2
; %bb.207:
	ds_store_b64 v9, v[0:1] offset:18432
; %bb.208:
	s_or_b32 exec_lo, exec_lo, s1
	s_delay_alu instid0(SALU_CYCLE_1)
	s_mov_b32 s1, exec_lo
	s_wait_dscnt 0x0
	s_barrier_signal -1
	s_barrier_wait -1
	v_cmpx_gt_u32_e32 8, v24
	s_cbranch_execz .LBB29_216
; %bb.209:
	v_add_nc_u32_e32 v11, v27, v26
	v_and_b32_e32 v12, 7, v10
	s_mov_b32 s2, exec_lo
	ds_load_b64 v[0:1], v11
	s_wait_dscnt 0x0
	v_mov_b32_dpp v4, v0 row_shr:1 row_mask:0xf bank_mask:0xf
	v_mov_b32_dpp v7, v1 row_shr:1 row_mask:0xf bank_mask:0xf
	v_mov_b32_e32 v2, v0
	v_cmpx_ne_u32_e32 0, v12
; %bb.210:
	v_mov_b32_e32 v6, 0
	s_delay_alu instid0(VALU_DEP_1) | instskip(NEXT) | instid1(VALU_DEP_1)
	v_mov_b32_e32 v5, v6
	v_add_nc_u64_e32 v[2:3], v[0:1], v[4:5]
	s_delay_alu instid0(VALU_DEP_1)
	v_add_nc_u64_e32 v[0:1], v[6:7], v[2:3]
; %bb.211:
	s_or_b32 exec_lo, exec_lo, s2
	v_mov_b32_dpp v4, v2 row_shr:2 row_mask:0xf bank_mask:0xf
	s_delay_alu instid0(VALU_DEP_2)
	v_mov_b32_dpp v7, v1 row_shr:2 row_mask:0xf bank_mask:0xf
	s_mov_b32 s2, exec_lo
	v_cmpx_lt_u32_e32 1, v12
; %bb.212:
	v_mov_b32_e32 v6, 0
	s_delay_alu instid0(VALU_DEP_1) | instskip(NEXT) | instid1(VALU_DEP_1)
	v_mov_b32_e32 v5, v6
	v_add_nc_u64_e32 v[2:3], v[0:1], v[4:5]
	s_delay_alu instid0(VALU_DEP_1)
	v_add_nc_u64_e32 v[0:1], v[6:7], v[2:3]
; %bb.213:
	s_or_b32 exec_lo, exec_lo, s2
	v_mov_b32_dpp v2, v2 row_shr:4 row_mask:0xf bank_mask:0xf
	s_delay_alu instid0(VALU_DEP_2)
	v_mov_b32_dpp v5, v1 row_shr:4 row_mask:0xf bank_mask:0xf
	s_mov_b32 s2, exec_lo
	v_cmpx_lt_u32_e32 3, v12
; %bb.214:
	v_mov_b32_e32 v4, 0
	s_delay_alu instid0(VALU_DEP_1) | instskip(NEXT) | instid1(VALU_DEP_1)
	v_mov_b32_e32 v3, v4
	v_add_nc_u64_e32 v[0:1], v[0:1], v[2:3]
	s_delay_alu instid0(VALU_DEP_1)
	v_add_nc_u64_e32 v[0:1], v[0:1], v[4:5]
; %bb.215:
	s_or_b32 exec_lo, exec_lo, s2
	ds_store_b64 v11, v[0:1]
.LBB29_216:
	s_or_b32 exec_lo, exec_lo, s1
	v_mov_b64_e32 v[0:1], 0
	v_mov_b64_e32 v[2:3], 0
	s_mov_b32 s1, exec_lo
	s_wait_dscnt 0x0
	s_barrier_signal -1
	s_barrier_wait -1
	v_cmpx_lt_u32_e32 31, v24
; %bb.217:
	ds_load_b64 v[2:3], v9 offset:18424
; %bb.218:
	s_or_b32 exec_lo, exec_lo, s1
	s_wait_dscnt 0x0
	v_sub_co_u32 v3, vcc_lo, v10, 1
	s_movk_i32 s6, 0x4838
	v_cmp_gt_i32_e64 s1, 0, v3
	s_delay_alu instid0(VALU_DEP_1) | instskip(NEXT) | instid1(VALU_DEP_1)
	v_cndmask_b32_e64 v3, v3, v10, s1
	v_dual_add_nc_u32 v4, v8, v2 :: v_dual_lshlrev_b32 v3, 2, v3
	ds_bpermute_b32 v3, v3, v4
	s_wait_dscnt 0x0
	v_cndmask_b32_e32 v4, v3, v2, vcc_lo
.LBB29_219:
	s_wait_dscnt 0x0
	s_delay_alu instid0(VALU_DEP_1)
	v_dual_mov_b32 v2, s6 :: v_dual_sub_nc_u32 v4, v4, v0
	s_xor_b32 s1, s12, -1
	s_xor_b32 s2, s13, -1
	;; [unrolled: 1-line block ×3, first 2 shown]
	ds_load_b64 v[2:3], v2
	s_xor_b32 s4, s25, -1
	s_xor_b32 s5, s18, -1
	s_wait_dscnt 0x0
	s_barrier_signal -1
	s_barrier_wait -1
	s_and_saveexec_b32 s6, s15
	s_cbranch_execnz .LBB29_261
; %bb.220:
	s_or_b32 exec_lo, exec_lo, s6
	s_and_saveexec_b32 s6, s5
	s_cbranch_execnz .LBB29_262
.LBB29_221:
	s_or_b32 exec_lo, exec_lo, s6
	s_and_saveexec_b32 s5, s4
	s_cbranch_execnz .LBB29_263
.LBB29_222:
	s_or_b32 exec_lo, exec_lo, s5
	s_and_saveexec_b32 s4, s3
	s_cbranch_execnz .LBB29_264
.LBB29_223:
	s_or_b32 exec_lo, exec_lo, s4
	s_and_saveexec_b32 s3, s2
	s_cbranch_execnz .LBB29_265
.LBB29_224:
	s_or_b32 exec_lo, exec_lo, s3
	s_and_saveexec_b32 s2, s1
.LBB29_225:
	v_dual_lshlrev_b32 v5, 2, v4 :: v_dual_add_nc_u32 v4, 1, v4
	ds_store_b32 v5, v33 offset:19456
.LBB29_226:
	s_or_b32 exec_lo, exec_lo, s2
	v_and_b32_e32 v5, 64, v49
	s_mov_b32 s1, exec_lo
	s_delay_alu instid0(VALU_DEP_1)
	v_cmpx_ne_u32_e32 0, v5
; %bb.227:
	v_dual_lshlrev_b32 v5, 2, v4 :: v_dual_add_nc_u32 v4, 1, v4
	ds_store_b32 v5, v34 offset:19456
; %bb.228:
	s_or_b32 exec_lo, exec_lo, s1
	v_and_b32_e32 v5, 0x80, v48
	s_mov_b32 s1, exec_lo
	s_delay_alu instid0(VALU_DEP_1)
	v_cmpx_ne_u32_e32 0, v5
; %bb.229:
	v_dual_lshlrev_b32 v5, 2, v4 :: v_dual_add_nc_u32 v4, 1, v4
	ds_store_b32 v5, v35 offset:19456
; %bb.230:
	s_or_b32 exec_lo, exec_lo, s1
	v_and_b32_e32 v5, 0x100, v47
	s_mov_b32 s1, exec_lo
	s_delay_alu instid0(VALU_DEP_1)
	v_cmpx_ne_u32_e32 0, v5
; %bb.231:
	v_dual_lshlrev_b32 v5, 2, v4 :: v_dual_add_nc_u32 v4, 1, v4
	ds_store_b32 v5, v36 offset:19456
; %bb.232:
	s_or_b32 exec_lo, exec_lo, s1
	v_and_b32_e32 v5, 0x200, v47
	s_mov_b32 s1, exec_lo
	s_delay_alu instid0(VALU_DEP_1)
	v_cmpx_ne_u32_e32 0, v5
; %bb.233:
	v_dual_lshlrev_b32 v5, 2, v4 :: v_dual_add_nc_u32 v4, 1, v4
	ds_store_b32 v5, v37 offset:19456
; %bb.234:
	s_or_b32 exec_lo, exec_lo, s1
	v_and_b32_e32 v5, 0x400, v46
	s_mov_b32 s1, exec_lo
	s_delay_alu instid0(VALU_DEP_1)
	v_cmpx_ne_u32_e32 0, v5
; %bb.235:
	v_dual_lshlrev_b32 v5, 2, v4 :: v_dual_add_nc_u32 v4, 1, v4
	ds_store_b32 v5, v38 offset:19456
; %bb.236:
	s_or_b32 exec_lo, exec_lo, s1
	v_and_b32_e32 v5, 0x800, v46
	s_mov_b32 s1, exec_lo
	s_delay_alu instid0(VALU_DEP_1)
	v_cmpx_ne_u32_e32 0, v5
; %bb.237:
	v_dual_lshlrev_b32 v5, 2, v4 :: v_dual_add_nc_u32 v4, 1, v4
	ds_store_b32 v5, v39 offset:19456
; %bb.238:
	s_or_b32 exec_lo, exec_lo, s1
	v_and_b32_e32 v5, 0x1000, v45
	s_mov_b32 s1, exec_lo
	s_delay_alu instid0(VALU_DEP_1)
	v_cmpx_ne_u32_e32 0, v5
; %bb.239:
	v_dual_lshlrev_b32 v5, 2, v4 :: v_dual_add_nc_u32 v4, 1, v4
	ds_store_b32 v5, v40 offset:19456
; %bb.240:
	s_or_b32 exec_lo, exec_lo, s1
	v_and_b32_e32 v5, 0x2000, v45
	s_mov_b32 s1, exec_lo
	s_delay_alu instid0(VALU_DEP_1)
	v_cmpx_ne_u32_e32 0, v5
; %bb.241:
	v_dual_lshlrev_b32 v5, 2, v4 :: v_dual_add_nc_u32 v4, 1, v4
	ds_store_b32 v5, v41 offset:19456
; %bb.242:
	s_or_b32 exec_lo, exec_lo, s1
	v_and_b32_e32 v5, 0x4000, v44
	s_mov_b32 s1, exec_lo
	s_delay_alu instid0(VALU_DEP_1)
	v_cmpx_ne_u32_e32 0, v5
; %bb.243:
	v_dual_lshlrev_b32 v5, 2, v4 :: v_dual_add_nc_u32 v4, 1, v4
	ds_store_b32 v5, v42 offset:19456
; %bb.244:
	s_or_b32 exec_lo, exec_lo, s1
	v_and_b32_e32 v5, 0x8000, v44
	s_mov_b32 s1, exec_lo
	s_delay_alu instid0(VALU_DEP_1)
	v_cmpx_ne_u32_e32 0, v5
; %bb.245:
	v_lshlrev_b32_e32 v4, 2, v4
	ds_store_b32 v4, v43 offset:19456
; %bb.246:
	s_or_b32 exec_lo, exec_lo, s1
	s_wait_dscnt 0x0
	s_barrier_signal -1
	s_barrier_wait -1
	s_and_saveexec_b32 s1, s0
	s_cbranch_execz .LBB29_248
; %bb.247:
	v_add_nc_u64_e32 v[0:1], v[2:3], v[0:1]
	v_mov_b32_e32 v2, 0
	global_store_b64 v2, v[0:1], s[26:27]
.LBB29_248:
	s_wait_xcnt 0x0
	s_or_b32 exec_lo, exec_lo, s1
	s_branch .LBB29_6
.LBB29_249:
	v_dual_mov_b32 v9, 0 :: v_dual_lshlrev_b32 v8, 2, v24
	v_subrev_nc_u32_e32 v2, s24, v24
	v_add_nc_u32_e32 v14, 0x200, v24
	v_cmp_gt_i32_e32 vcc_lo, s24, v24
	s_delay_alu instid0(VALU_DEP_4)
	v_dual_mov_b32 v3, v9 :: v_dual_add_nc_u32 v22, 0x700, v24
	v_add_nc_u64_e32 v[0:1], v[18:19], v[8:9]
	v_mov_b32_e32 v5, v9
	v_subrev_nc_u32_e32 v6, s24, v14
	v_or_b32_e32 v18, 0x400, v24
	v_lshl_add_u64 v[2:3], v[2:3], 2, v[16:17]
	v_mov_b32_e32 v19, v9
	v_or_b32_e32 v29, 0xc00, v24
	v_add_nc_u64_e32 v[10:11], 0x400, v[0:1]
	s_delay_alu instid0(VALU_DEP_4)
	v_dual_cndmask_b32 v13, v3, v1 :: v_dual_add_nc_u32 v36, 0xe00, v24
	v_cndmask_b32_e32 v12, v2, v0, vcc_lo
	v_cmp_gt_i32_e32 vcc_lo, s24, v14
	v_add_nc_u32_e32 v7, 0x100, v24
	v_add_nc_u64_e32 v[32:33], 0x3400, v[0:1]
	v_add_nc_u64_e32 v[34:35], 0x3800, v[0:1]
	v_add_nc_u32_e32 v20, 0x500, v24
	v_add_nc_u32_e32 v28, 0xb00, v24
	v_subrev_nc_u32_e32 v4, s24, v7
	v_cmp_gt_i32_e64 s0, s24, v7
	v_dual_mov_b32 v7, v9 :: v_dual_mov_b32 v31, v9
	s_delay_alu instid0(VALU_DEP_3) | instskip(NEXT) | instid1(VALU_DEP_2)
	v_lshl_add_u64 v[4:5], v[4:5], 2, v[16:17]
	v_lshl_add_u64 v[6:7], v[6:7], 2, v[16:17]
	s_delay_alu instid0(VALU_DEP_2)
	v_dual_cndmask_b32 v5, v5, v11, s0 :: v_dual_cndmask_b32 v4, v4, v10, s0
	v_add_nc_u64_e32 v[10:11], 0x800, v[0:1]
	global_load_b32 v2, v[12:13], off
	global_load_b32 v3, v[4:5], off
	s_wait_xcnt 0x0
	v_mov_b32_e32 v5, v9
	v_subrev_nc_u32_e32 v12, s24, v18
	v_dual_mov_b32 v13, v9 :: v_dual_cndmask_b32 v7, v7, v11, vcc_lo
	v_cndmask_b32_e32 v6, v6, v10, vcc_lo
	v_add_nc_u64_e32 v[10:11], 0xc00, v[0:1]
	v_add_nc_u32_e32 v15, 0x300, v24
	s_delay_alu instid0(VALU_DEP_4) | instskip(SKIP_2) | instid1(VALU_DEP_4)
	v_lshl_add_u64 v[12:13], v[12:13], 2, v[16:17]
	v_cmp_gt_i32_e64 s0, s24, v18
	v_subrev_nc_u32_e32 v18, s24, v20
	v_subrev_nc_u32_e32 v4, s24, v15
	v_cmp_gt_i32_e32 vcc_lo, s24, v15
	v_add_nc_u64_e32 v[14:15], 0x1000, v[0:1]
	s_delay_alu instid0(VALU_DEP_4) | instskip(NEXT) | instid1(VALU_DEP_4)
	v_lshl_add_u64 v[18:19], v[18:19], 2, v[16:17]
	v_lshl_add_u64 v[4:5], v[4:5], 2, v[16:17]
	s_delay_alu instid0(VALU_DEP_1) | instskip(NEXT) | instid1(VALU_DEP_2)
	v_dual_cndmask_b32 v12, v12, v14, s0 :: v_dual_cndmask_b32 v11, v5, v11, vcc_lo
	v_cndmask_b32_e32 v10, v4, v10, vcc_lo
	v_cmp_gt_i32_e32 vcc_lo, s24, v20
	v_cndmask_b32_e64 v13, v13, v15, s0
	v_add_nc_u64_e32 v[14:15], 0x1400, v[0:1]
	global_load_b32 v4, v[6:7], off
	s_wait_xcnt 0x0
	v_add_nc_u32_e32 v7, 0x600, v24
	global_load_b32 v5, v[10:11], off
	v_add_nc_u64_e32 v[20:21], 0x1c00, v[0:1]
	v_cmp_gt_i32_e64 s0, s24, v22
	s_wait_xcnt 0x0
	v_cndmask_b32_e32 v11, v19, v15, vcc_lo
	global_load_b32 v6, v[12:13], off
	s_wait_xcnt 0x0
	v_dual_mov_b32 v13, v9 :: v_dual_mov_b32 v19, v9
	v_cndmask_b32_e32 v10, v18, v14, vcc_lo
	v_subrev_nc_u32_e32 v12, s24, v7
	v_add_nc_u64_e32 v[14:15], 0x1800, v[0:1]
	v_subrev_nc_u32_e32 v18, s24, v22
	v_cmp_gt_i32_e32 vcc_lo, s24, v7
	global_load_b32 v7, v[10:11], off
	v_lshl_add_u64 v[12:13], v[12:13], 2, v[16:17]
	v_or_b32_e32 v22, 0x800, v24
	s_wait_xcnt 0x0
	v_lshl_add_u64 v[10:11], v[18:19], 2, v[16:17]
	v_add_nc_u64_e32 v[18:19], 0x2000, v[0:1]
	v_dual_cndmask_b32 v13, v13, v15 :: v_dual_cndmask_b32 v12, v12, v14
	s_delay_alu instid0(VALU_DEP_3)
	v_dual_cndmask_b32 v15, v11, v21, s0 :: v_dual_cndmask_b32 v14, v10, v20, s0
	v_cmp_gt_i32_e32 vcc_lo, s24, v22
	v_add_nc_u64_e32 v[20:21], 0x2400, v[0:1]
	global_load_b32 v10, v[12:13], off
	s_wait_xcnt 0x0
	v_subrev_nc_u32_e32 v12, s24, v22
	v_mov_b32_e32 v13, v9
	global_load_b32 v11, v[14:15], off
	s_wait_xcnt 0x0
	v_mov_b32_e32 v15, v9
	v_lshl_add_u64 v[12:13], v[12:13], 2, v[16:17]
	v_add_nc_u32_e32 v23, 0x900, v24
	s_delay_alu instid0(VALU_DEP_2) | instskip(NEXT) | instid1(VALU_DEP_3)
	v_dual_cndmask_b32 v19, v13, v19 :: v_dual_add_nc_u32 v22, 0xa00, v24
	v_cndmask_b32_e32 v18, v12, v18, vcc_lo
	s_delay_alu instid0(VALU_DEP_3) | instskip(SKIP_1) | instid1(VALU_DEP_4)
	v_subrev_nc_u32_e32 v14, s24, v23
	v_cmp_gt_i32_e64 s0, s24, v23
	v_cmp_gt_i32_e32 vcc_lo, s24, v22
	s_delay_alu instid0(VALU_DEP_3) | instskip(NEXT) | instid1(VALU_DEP_1)
	v_lshl_add_u64 v[14:15], v[14:15], 2, v[16:17]
	v_dual_cndmask_b32 v15, v15, v21, s0 :: v_dual_cndmask_b32 v14, v14, v20, s0
	v_subrev_nc_u32_e32 v20, s24, v22
	v_mov_b32_e32 v21, v9
	global_load_b32 v12, v[18:19], off
	global_load_b32 v13, v[14:15], off
	s_wait_xcnt 0x0
	v_add_nc_u64_e32 v[14:15], 0x2800, v[0:1]
	v_add_nc_u64_e32 v[22:23], 0x2c00, v[0:1]
	v_lshl_add_u64 v[18:19], v[20:21], 2, v[16:17]
	v_subrev_nc_u32_e32 v20, s24, v28
	s_delay_alu instid0(VALU_DEP_2) | instskip(NEXT) | instid1(VALU_DEP_2)
	v_dual_cndmask_b32 v27, v19, v15 :: v_dual_cndmask_b32 v26, v18, v14
	v_lshl_add_u64 v[20:21], v[20:21], 2, v[16:17]
	v_cmp_gt_i32_e32 vcc_lo, s24, v28
	v_subrev_nc_u32_e32 v14, s24, v29
	v_dual_mov_b32 v15, v9 :: v_dual_add_nc_u32 v28, 0xd00, v24
	v_add_nc_u64_e32 v[18:19], 0x3000, v[0:1]
	v_dual_cndmask_b32 v23, v21, v23 :: v_dual_cndmask_b32 v22, v20, v22
	s_delay_alu instid0(VALU_DEP_3)
	v_lshl_add_u64 v[14:15], v[14:15], 2, v[16:17]
	v_cmp_gt_i32_e32 vcc_lo, s24, v29
	v_subrev_nc_u32_e32 v20, s24, v28
	v_mov_b32_e32 v21, v9
	v_subrev_nc_u32_e32 v30, s24, v36
	v_cmp_gt_i32_e64 s0, s24, v28
	v_cndmask_b32_e32 v29, v15, v19, vcc_lo
	v_cmp_gt_i32_e64 s1, s24, v36
	v_lshl_add_u64 v[20:21], v[20:21], 2, v[16:17]
	v_lshl_add_u64 v[30:31], v[30:31], 2, v[16:17]
	s_delay_alu instid0(VALU_DEP_2) | instskip(NEXT) | instid1(VALU_DEP_2)
	v_dual_cndmask_b32 v28, v14, v18, vcc_lo :: v_dual_cndmask_b32 v33, v21, v33, s0
	v_dual_cndmask_b32 v32, v20, v32, s0 :: v_dual_cndmask_b32 v31, v31, v35, s1
	s_delay_alu instid0(VALU_DEP_3)
	v_dual_cndmask_b32 v30, v30, v34, s1 :: v_dual_add_nc_u32 v21, s24, v25
	global_load_b32 v18, v[26:27], off
	global_load_b32 v19, v[22:23], off
	;; [unrolled: 1-line block ×5, first 2 shown]
	s_wait_xcnt 0x3
	v_add_nc_u32_e32 v22, 0xf00, v24
	s_mov_b32 s0, exec_lo
	s_wait_xcnt 0x0
	s_delay_alu instid0(VALU_DEP_1)
	v_cmpx_lt_i32_e64 v22, v21
	s_cbranch_execz .LBB29_251
; %bb.250:
	v_subrev_nc_u32_e32 v26, s24, v22
	v_add_nc_u64_e32 v[0:1], 0x3c00, v[0:1]
	v_cmp_gt_i32_e32 vcc_lo, s24, v22
	v_mov_b32_e32 v27, 0
	s_delay_alu instid0(VALU_DEP_1) | instskip(NEXT) | instid1(VALU_DEP_1)
	v_lshl_add_u64 v[16:17], v[26:27], 2, v[16:17]
	v_dual_cndmask_b32 v1, v17, v1 :: v_dual_cndmask_b32 v0, v16, v0
	global_load_b32 v9, v[0:1], off
.LBB29_251:
	s_wait_xcnt 0x0
	s_or_b32 exec_lo, exec_lo, s0
	v_lshlrev_b32_e32 v0, 4, v24
	s_wait_loadcnt 0xd
	ds_store_2addr_stride64_b32 v8, v2, v3 offset0:4 offset1:8
	s_wait_loadcnt 0xb
	ds_store_2addr_stride64_b32 v8, v4, v5 offset0:12 offset1:16
	s_lshl_b32 s1, s24, 2
	s_mov_b32 s2, 0
	s_mov_b32 s0, exec_lo
	v_min_i32_e32 v1, v21, v0
	s_wait_loadcnt 0x9
	ds_store_2addr_stride64_b32 v8, v6, v7 offset0:20 offset1:24
	s_wait_loadcnt 0x7
	ds_store_2addr_stride64_b32 v8, v10, v11 offset0:28 offset1:32
	;; [unrolled: 2-line block ×6, first 2 shown]
	s_wait_storecnt_dscnt 0x0
	s_barrier_signal -1
	v_sub_nc_u32_e32 v0, v1, v25
	v_min_i32_e32 v2, s24, v1
	s_barrier_wait -1
	s_delay_alu instid0(VALU_DEP_2) | instskip(NEXT) | instid1(VALU_DEP_1)
	v_max_i32_e32 v0, 0, v0
	v_cmpx_lt_i32_e64 v0, v2
	s_cbranch_execz .LBB29_255
; %bb.252:
	v_lshlrev_b32_e32 v3, 2, v1
	s_delay_alu instid0(VALU_DEP_1)
	v_add3_u32 v3, s1, v3, 0x400
.LBB29_253:                             ; =>This Inner Loop Header: Depth=1
	v_add_nc_u32_e32 v4, v2, v0
	s_delay_alu instid0(VALU_DEP_1) | instskip(NEXT) | instid1(VALU_DEP_1)
	v_lshrrev_b32_e32 v4, 1, v4
	v_not_b32_e32 v5, v4
	v_dual_lshlrev_b32 v6, 2, v4 :: v_dual_add_nc_u32 v7, 1, v4
	s_delay_alu instid0(VALU_DEP_2)
	v_lshl_add_u32 v5, v5, 2, v3
	ds_load_b32 v6, v6 offset:1024
	ds_load_b32 v5, v5
	s_wait_dscnt 0x0
	v_cmp_lt_i32_e32 vcc_lo, v5, v6
	v_cndmask_b32_e32 v2, v2, v4, vcc_lo
	v_cndmask_b32_e32 v0, v7, v0, vcc_lo
	s_delay_alu instid0(VALU_DEP_1) | instskip(SKIP_1) | instid1(SALU_CYCLE_1)
	v_cmp_ge_i32_e32 vcc_lo, v0, v2
	s_or_b32 s2, vcc_lo, s2
	s_and_not1_b32 exec_lo, exec_lo, s2
	s_cbranch_execnz .LBB29_253
; %bb.254:
	s_or_b32 exec_lo, exec_lo, s2
.LBB29_255:
	s_delay_alu instid0(SALU_CYCLE_1) | instskip(SKIP_2) | instid1(VALU_DEP_1)
	s_or_b32 exec_lo, exec_lo, s0
	v_dual_sub_nc_u32 v5, v1, v0 :: v_dual_mov_b32 v3, 0
	s_mov_b32 s2, exec_lo
	v_cmpx_lt_i32_e64 v5, v25
	s_cbranch_execz .LBB29_290
; %bb.256:
	v_lshl_add_u32 v3, v5, 2, s1
	v_dual_mov_b32 v2, 0 :: v_dual_mov_b32 v6, 0
	s_mov_b32 s0, exec_lo
	ds_load_b32 v4, v3 offset:1024
	v_cmpx_lt_i32_e32 0, v0
	s_cbranch_execnz .LBB29_266
; %bb.257:
	s_or_b32 exec_lo, exec_lo, s0
	s_delay_alu instid0(SALU_CYCLE_1)
	s_mov_b32 s0, exec_lo
	v_cmpx_lt_i32_e64 v2, v6
	s_cbranch_execnz .LBB29_267
.LBB29_258:
	s_or_b32 exec_lo, exec_lo, s0
	s_delay_alu instid0(SALU_CYCLE_1)
	s_mov_b32 s0, exec_lo
	v_cmpx_lt_i32_e64 v2, v6
	s_cbranch_execnz .LBB29_268
.LBB29_259:
	s_or_b32 exec_lo, exec_lo, s0
	s_delay_alu instid0(SALU_CYCLE_1)
	s_mov_b32 s0, exec_lo
	v_cmpx_lt_i32_e64 v2, v6
	s_cbranch_execnz .LBB29_269
.LBB29_260:
	s_or_b32 exec_lo, exec_lo, s0
	s_delay_alu instid0(SALU_CYCLE_1)
	s_mov_b32 s0, exec_lo
	v_cmpx_lt_i32_e64 v2, v6
	s_cbranch_execnz .LBB29_270
	s_branch .LBB29_273
.LBB29_261:
	v_dual_add_nc_u32 v5, 1, v4 :: v_dual_lshlrev_b32 v6, 2, v4
	s_delay_alu instid0(VALU_DEP_1)
	v_mov_b32_e32 v4, v5
	ds_store_b32 v6, v29 offset:19456
	s_or_b32 exec_lo, exec_lo, s6
	s_and_saveexec_b32 s6, s5
	s_cbranch_execz .LBB29_221
.LBB29_262:
	v_dual_lshlrev_b32 v5, 2, v4 :: v_dual_add_nc_u32 v4, 1, v4
	ds_store_b32 v5, v28 offset:19456
	s_or_b32 exec_lo, exec_lo, s6
	s_and_saveexec_b32 s5, s4
	s_cbranch_execz .LBB29_222
.LBB29_263:
	v_dual_lshlrev_b32 v5, 2, v4 :: v_dual_add_nc_u32 v4, 1, v4
	ds_store_b32 v5, v30 offset:19456
	s_or_b32 exec_lo, exec_lo, s5
	s_and_saveexec_b32 s4, s3
	s_cbranch_execz .LBB29_223
.LBB29_264:
	v_dual_lshlrev_b32 v5, 2, v4 :: v_dual_add_nc_u32 v4, 1, v4
	ds_store_b32 v5, v31 offset:19456
	s_or_b32 exec_lo, exec_lo, s4
	s_and_saveexec_b32 s3, s2
	s_cbranch_execz .LBB29_224
.LBB29_265:
	v_dual_lshlrev_b32 v5, 2, v4 :: v_dual_add_nc_u32 v4, 1, v4
	ds_store_b32 v5, v32 offset:19456
	s_or_b32 exec_lo, exec_lo, s3
	s_and_saveexec_b32 s2, s1
	s_cbranch_execnz .LBB29_225
	s_branch .LBB29_226
.LBB29_266:
	v_mul_lo_u32 v2, 0x1ff, v0
	s_delay_alu instid0(VALU_DEP_1) | instskip(NEXT) | instid1(VALU_DEP_1)
	v_ashrrev_i32_e32 v6, 9, v2
	v_dual_lshlrev_b32 v2, 2, v6 :: v_dual_add_nc_u32 v7, 1, v6
	ds_load_b32 v2, v2 offset:1024
	s_wait_dscnt 0x0
	v_cmp_lt_i32_e32 vcc_lo, v2, v4
	v_dual_cndmask_b32 v2, 0, v7, vcc_lo :: v_dual_cndmask_b32 v6, v6, v0, vcc_lo
	s_or_b32 exec_lo, exec_lo, s0
	s_delay_alu instid0(SALU_CYCLE_1) | instskip(NEXT) | instid1(VALU_DEP_1)
	s_mov_b32 s0, exec_lo
	v_cmpx_lt_i32_e64 v2, v6
	s_cbranch_execz .LBB29_258
.LBB29_267:
	v_sub_nc_u32_e32 v7, v2, v6
	s_delay_alu instid0(VALU_DEP_1) | instskip(NEXT) | instid1(VALU_DEP_1)
	v_lshl_add_u32 v7, v6, 7, v7
	v_ashrrev_i32_e32 v7, 7, v7
	s_delay_alu instid0(VALU_DEP_1)
	v_dual_lshlrev_b32 v9, 2, v7 :: v_dual_add_nc_u32 v10, 1, v7
	ds_load_b32 v9, v9 offset:1024
	s_wait_dscnt 0x0
	v_cmp_lt_i32_e32 vcc_lo, v9, v4
	v_cndmask_b32_e32 v2, v2, v10, vcc_lo
	v_cndmask_b32_e32 v6, v7, v6, vcc_lo
	s_or_b32 exec_lo, exec_lo, s0
	s_delay_alu instid0(SALU_CYCLE_1) | instskip(NEXT) | instid1(VALU_DEP_1)
	s_mov_b32 s0, exec_lo
	v_cmpx_lt_i32_e64 v2, v6
	s_cbranch_execz .LBB29_259
.LBB29_268:
	v_sub_nc_u32_e32 v7, v2, v6
	s_delay_alu instid0(VALU_DEP_1) | instskip(NEXT) | instid1(VALU_DEP_1)
	v_lshl_add_u32 v7, v6, 5, v7
	v_ashrrev_i32_e32 v7, 5, v7
	s_delay_alu instid0(VALU_DEP_1)
	v_dual_lshlrev_b32 v9, 2, v7 :: v_dual_add_nc_u32 v10, 1, v7
	ds_load_b32 v9, v9 offset:1024
	s_wait_dscnt 0x0
	v_cmp_lt_i32_e32 vcc_lo, v9, v4
	v_cndmask_b32_e32 v2, v2, v10, vcc_lo
	v_cndmask_b32_e32 v6, v7, v6, vcc_lo
	s_or_b32 exec_lo, exec_lo, s0
	s_delay_alu instid0(SALU_CYCLE_1) | instskip(NEXT) | instid1(VALU_DEP_1)
	s_mov_b32 s0, exec_lo
	v_cmpx_lt_i32_e64 v2, v6
	s_cbranch_execz .LBB29_260
.LBB29_269:
	v_sub_nc_u32_e32 v7, v2, v6
	s_delay_alu instid0(VALU_DEP_1) | instskip(NEXT) | instid1(VALU_DEP_1)
	v_lshl_add_u32 v7, v6, 4, v7
	v_ashrrev_i32_e32 v7, 4, v7
	s_delay_alu instid0(VALU_DEP_1)
	v_dual_lshlrev_b32 v9, 2, v7 :: v_dual_add_nc_u32 v10, 1, v7
	ds_load_b32 v9, v9 offset:1024
	s_wait_dscnt 0x0
	v_cmp_lt_i32_e32 vcc_lo, v9, v4
	v_cndmask_b32_e32 v2, v2, v10, vcc_lo
	v_cndmask_b32_e32 v6, v7, v6, vcc_lo
	s_or_b32 exec_lo, exec_lo, s0
	s_delay_alu instid0(SALU_CYCLE_1) | instskip(NEXT) | instid1(VALU_DEP_1)
	s_mov_b32 s0, exec_lo
	v_cmpx_lt_i32_e64 v2, v6
	s_cbranch_execz .LBB29_273
.LBB29_270:
	s_mov_b32 s3, 0
.LBB29_271:                             ; =>This Inner Loop Header: Depth=1
	v_sub_nc_u32_e32 v7, v2, v6
	s_delay_alu instid0(VALU_DEP_1) | instskip(NEXT) | instid1(VALU_DEP_1)
	v_lshl_add_u32 v7, v6, 1, v7
	v_ashrrev_i32_e32 v7, 1, v7
	s_delay_alu instid0(VALU_DEP_1)
	v_dual_lshlrev_b32 v9, 2, v7 :: v_dual_add_nc_u32 v10, 1, v7
	ds_load_b32 v9, v9 offset:1024
	s_wait_dscnt 0x0
	v_cmp_lt_i32_e32 vcc_lo, v9, v4
	v_cndmask_b32_e32 v2, v2, v10, vcc_lo
	v_cndmask_b32_e32 v6, v7, v6, vcc_lo
	s_delay_alu instid0(VALU_DEP_1) | instskip(SKIP_1) | instid1(SALU_CYCLE_1)
	v_cmp_ge_i32_e32 vcc_lo, v2, v6
	s_or_b32 s3, vcc_lo, s3
	s_and_not1_b32 exec_lo, exec_lo, s3
	s_cbranch_execnz .LBB29_271
; %bb.272:
	s_or_b32 exec_lo, exec_lo, s3
.LBB29_273:
	s_delay_alu instid0(SALU_CYCLE_1)
	s_or_b32 exec_lo, exec_lo, s0
	v_dual_mov_b32 v6, 0 :: v_dual_mov_b32 v7, v5
	s_mov_b32 s0, exec_lo
	v_cmpx_lt_i32_e32 0, v5
	s_cbranch_execnz .LBB29_278
; %bb.274:
	s_or_b32 exec_lo, exec_lo, s0
	s_delay_alu instid0(SALU_CYCLE_1)
	s_mov_b32 s0, exec_lo
	v_cmpx_lt_i32_e64 v6, v7
	s_cbranch_execnz .LBB29_279
.LBB29_275:
	s_or_b32 exec_lo, exec_lo, s0
	s_delay_alu instid0(SALU_CYCLE_1)
	s_mov_b32 s0, exec_lo
	v_cmpx_lt_i32_e64 v6, v7
	s_cbranch_execnz .LBB29_280
.LBB29_276:
	s_or_b32 exec_lo, exec_lo, s0
	s_delay_alu instid0(SALU_CYCLE_1)
	s_mov_b32 s0, exec_lo
	v_cmpx_lt_i32_e64 v6, v7
	s_cbranch_execnz .LBB29_281
.LBB29_277:
	s_or_b32 exec_lo, exec_lo, s0
	s_delay_alu instid0(SALU_CYCLE_1)
	s_mov_b32 s0, exec_lo
	v_cmpx_lt_i32_e64 v6, v7
	s_cbranch_execnz .LBB29_282
	s_branch .LBB29_285
.LBB29_278:
	v_mul_lo_u32 v6, 0x1ff, v5
	s_delay_alu instid0(VALU_DEP_1) | instskip(NEXT) | instid1(VALU_DEP_1)
	v_lshrrev_b32_e32 v7, 9, v6
	v_lshl_add_u32 v6, v7, 2, s1
	ds_load_b32 v6, v6 offset:1024
	s_wait_dscnt 0x0
	v_cmp_lt_i32_e32 vcc_lo, v6, v4
	v_add_nc_u32_e32 v9, 1, v7
	s_delay_alu instid0(VALU_DEP_1) | instskip(SKIP_2) | instid1(SALU_CYCLE_1)
	v_cndmask_b32_e32 v6, 0, v9, vcc_lo
	v_cndmask_b32_e32 v7, v7, v5, vcc_lo
	s_or_b32 exec_lo, exec_lo, s0
	s_mov_b32 s0, exec_lo
	s_delay_alu instid0(VALU_DEP_1)
	v_cmpx_lt_i32_e64 v6, v7
	s_cbranch_execz .LBB29_275
.LBB29_279:
	v_sub_nc_u32_e32 v9, v6, v7
	s_delay_alu instid0(VALU_DEP_1) | instskip(NEXT) | instid1(VALU_DEP_1)
	v_lshl_add_u32 v9, v7, 7, v9
	v_ashrrev_i32_e32 v9, 7, v9
	s_delay_alu instid0(VALU_DEP_1) | instskip(SKIP_4) | instid1(VALU_DEP_1)
	v_lshl_add_u32 v10, v9, 2, s1
	ds_load_b32 v10, v10 offset:1024
	s_wait_dscnt 0x0
	v_cmp_lt_i32_e32 vcc_lo, v10, v4
	v_add_nc_u32_e32 v11, 1, v9
	v_cndmask_b32_e32 v6, v6, v11, vcc_lo
	v_cndmask_b32_e32 v7, v9, v7, vcc_lo
	s_or_b32 exec_lo, exec_lo, s0
	s_delay_alu instid0(SALU_CYCLE_1) | instskip(NEXT) | instid1(VALU_DEP_1)
	s_mov_b32 s0, exec_lo
	v_cmpx_lt_i32_e64 v6, v7
	s_cbranch_execz .LBB29_276
.LBB29_280:
	v_sub_nc_u32_e32 v9, v6, v7
	s_delay_alu instid0(VALU_DEP_1) | instskip(NEXT) | instid1(VALU_DEP_1)
	v_lshl_add_u32 v9, v7, 5, v9
	v_ashrrev_i32_e32 v9, 5, v9
	s_delay_alu instid0(VALU_DEP_1) | instskip(SKIP_4) | instid1(VALU_DEP_1)
	v_lshl_add_u32 v10, v9, 2, s1
	ds_load_b32 v10, v10 offset:1024
	s_wait_dscnt 0x0
	v_cmp_lt_i32_e32 vcc_lo, v10, v4
	v_add_nc_u32_e32 v11, 1, v9
	v_cndmask_b32_e32 v6, v6, v11, vcc_lo
	v_cndmask_b32_e32 v7, v9, v7, vcc_lo
	s_or_b32 exec_lo, exec_lo, s0
	s_delay_alu instid0(SALU_CYCLE_1) | instskip(NEXT) | instid1(VALU_DEP_1)
	s_mov_b32 s0, exec_lo
	v_cmpx_lt_i32_e64 v6, v7
	s_cbranch_execz .LBB29_277
.LBB29_281:
	v_sub_nc_u32_e32 v9, v6, v7
	s_delay_alu instid0(VALU_DEP_1) | instskip(NEXT) | instid1(VALU_DEP_1)
	v_lshl_add_u32 v9, v7, 4, v9
	v_ashrrev_i32_e32 v9, 4, v9
	s_delay_alu instid0(VALU_DEP_1) | instskip(SKIP_4) | instid1(VALU_DEP_1)
	v_lshl_add_u32 v10, v9, 2, s1
	ds_load_b32 v10, v10 offset:1024
	s_wait_dscnt 0x0
	v_cmp_lt_i32_e32 vcc_lo, v10, v4
	v_add_nc_u32_e32 v11, 1, v9
	v_cndmask_b32_e32 v6, v6, v11, vcc_lo
	v_cndmask_b32_e32 v7, v9, v7, vcc_lo
	s_or_b32 exec_lo, exec_lo, s0
	s_delay_alu instid0(SALU_CYCLE_1) | instskip(NEXT) | instid1(VALU_DEP_1)
	s_mov_b32 s0, exec_lo
	v_cmpx_lt_i32_e64 v6, v7
	s_cbranch_execz .LBB29_285
.LBB29_282:
	s_mov_b32 s3, 0
.LBB29_283:                             ; =>This Inner Loop Header: Depth=1
	v_sub_nc_u32_e32 v9, v6, v7
	s_delay_alu instid0(VALU_DEP_1) | instskip(NEXT) | instid1(VALU_DEP_1)
	v_lshl_add_u32 v9, v7, 1, v9
	v_ashrrev_i32_e32 v9, 1, v9
	s_delay_alu instid0(VALU_DEP_1) | instskip(SKIP_4) | instid1(VALU_DEP_1)
	v_lshl_add_u32 v10, v9, 2, s1
	ds_load_b32 v10, v10 offset:1024
	s_wait_dscnt 0x0
	v_cmp_lt_i32_e32 vcc_lo, v10, v4
	v_add_nc_u32_e32 v11, 1, v9
	v_cndmask_b32_e32 v6, v6, v11, vcc_lo
	v_cndmask_b32_e32 v7, v9, v7, vcc_lo
	s_delay_alu instid0(VALU_DEP_1) | instskip(SKIP_1) | instid1(SALU_CYCLE_1)
	v_cmp_ge_i32_e32 vcc_lo, v6, v7
	s_or_b32 s3, vcc_lo, s3
	s_and_not1_b32 exec_lo, exec_lo, s3
	s_cbranch_execnz .LBB29_283
; %bb.284:
	s_or_b32 exec_lo, exec_lo, s3
.LBB29_285:
	s_delay_alu instid0(SALU_CYCLE_1) | instskip(SKIP_3) | instid1(VALU_DEP_1)
	s_or_b32 exec_lo, exec_lo, s0
	v_sub_nc_u32_e32 v0, v0, v2
	v_sub_nc_u32_e32 v9, v5, v6
	s_mov_b32 s0, exec_lo
	v_add_nc_u32_e32 v7, v9, v0
	s_delay_alu instid0(VALU_DEP_1) | instskip(NEXT) | instid1(VALU_DEP_1)
	v_ashrrev_i32_e32 v0, 1, v7
	v_max_i32_e32 v0, v0, v9
	s_delay_alu instid0(VALU_DEP_1) | instskip(NEXT) | instid1(VALU_DEP_1)
	v_add_nc_u32_e32 v6, v6, v0
	v_add_min_i32_e64 v6, v6, 1, v25
	s_delay_alu instid0(VALU_DEP_1) | instskip(NEXT) | instid1(VALU_DEP_1)
	v_dual_mov_b32 v5, 0 :: v_dual_sub_nc_u32 v6, v6, v5
	v_cmpx_lt_i32_e32 0, v6
	s_cbranch_execz .LBB29_289
; %bb.286:
	v_mov_b32_e32 v5, 0
	s_mov_b32 s3, 0
.LBB29_287:                             ; =>This Inner Loop Header: Depth=1
	s_delay_alu instid0(VALU_DEP_1) | instskip(NEXT) | instid1(VALU_DEP_1)
	v_add_nc_u32_e32 v10, v5, v6
	v_lshrrev_b32_e32 v10, 1, v10
	s_delay_alu instid0(VALU_DEP_1) | instskip(SKIP_4) | instid1(VALU_DEP_1)
	v_lshl_add_u32 v11, v10, 2, v3
	ds_load_b32 v11, v11 offset:1024
	s_wait_dscnt 0x0
	v_cmp_lt_i32_e32 vcc_lo, v4, v11
	v_dual_add_nc_u32 v12, 1, v10 :: v_dual_cndmask_b32 v6, v6, v10, vcc_lo
	v_cndmask_b32_e32 v5, v12, v5, vcc_lo
	s_delay_alu instid0(VALU_DEP_1) | instskip(SKIP_1) | instid1(SALU_CYCLE_1)
	v_cmp_ge_i32_e32 vcc_lo, v5, v6
	s_or_b32 s3, vcc_lo, s3
	s_and_not1_b32 exec_lo, exec_lo, s3
	s_cbranch_execnz .LBB29_287
; %bb.288:
	s_or_b32 exec_lo, exec_lo, s3
.LBB29_289:
	s_delay_alu instid0(SALU_CYCLE_1) | instskip(NEXT) | instid1(VALU_DEP_2)
	s_or_b32 exec_lo, exec_lo, s0
	v_add_nc_u32_e32 v3, v5, v9
	s_wait_dscnt 0x0
	s_delay_alu instid0(VALU_DEP_1) | instskip(NEXT) | instid1(VALU_DEP_1)
	v_min_i32_e32 v4, v3, v0
	v_sub_nc_u32_e32 v5, v7, v4
	v_cmp_lt_i32_e32 vcc_lo, v0, v3
	s_delay_alu instid0(VALU_DEP_2) | instskip(NEXT) | instid1(VALU_DEP_1)
	v_dual_add_nc_u32 v0, v5, v2 :: v_dual_add_nc_u32 v4, 1, v4
	v_cmp_eq_u32_e64 s0, v5, v4
	s_and_b32 s0, vcc_lo, s0
	s_delay_alu instid0(SALU_CYCLE_1)
	v_cndmask_b32_e64 v3, 0, 1, s0
.LBB29_290:
	s_or_b32 exec_lo, exec_lo, s2
	s_lshl_b32 s0, s24, 16
	s_delay_alu instid0(SALU_CYCLE_1) | instskip(SKIP_2) | instid1(VALU_DEP_1)
	v_or_b32_e32 v2, s0, v25
	v_sub_co_u32 v4, s0, v24, 1
	v_add_nc_u32_e32 v1, v3, v1
	v_sub_nc_u32_e32 v1, v1, v0
	s_delay_alu instid0(VALU_DEP_1) | instskip(NEXT) | instid1(VALU_DEP_1)
	v_lshl_or_b32 v3, v0, 16, v1
	v_cndmask_b32_e64 v2, v3, v2, s0
	v_cndmask_b32_e64 v3, v4, 0xff, s0
	s_delay_alu instid0(VALU_DEP_1)
	v_dual_lshlrev_b32 v4, 2, v0 :: v_dual_lshlrev_b32 v3, 2, v3
	v_lshl_add_u32 v6, v1, 2, s1
	s_mov_b32 s1, exec_lo
	ds_store_b32 v3, v2
	s_wait_dscnt 0x0
	s_barrier_signal -1
	s_barrier_wait -1
	ds_load_b32 v22, v4 offset:1024
	ds_load_b32 v2, v6 offset:1024
	ds_load_b32 v13, v8
	s_wait_dscnt 0x2
	v_dual_mov_b32 v3, v0 :: v_dual_mov_b32 v9, v22
	s_wait_dscnt 0x1
	v_cmpx_ge_i32_e64 v2, v22
; %bb.291:
	ds_load_b32 v9, v4 offset:1028
	v_add_nc_u32_e32 v3, 1, v0
; %bb.292:
	s_or_b32 exec_lo, exec_lo, s1
	v_dual_mov_b32 v5, v2 :: v_dual_add_nc_u32 v4, s24, v1
	s_mov_b32 s1, exec_lo
	v_cmpx_ge_i32_e64 v22, v2
; %bb.293:
	ds_load_b32 v5, v6 offset:1028
	v_add_nc_u32_e32 v4, 1, v4
; %bb.294:
	s_or_b32 exec_lo, exec_lo, s1
	s_wait_dscnt 0x0
	v_dual_mov_b32 v23, v9 :: v_dual_mov_b32 v6, v3
	s_mov_b32 s1, exec_lo
	v_cmpx_ge_i32_e64 v5, v9
; %bb.295:
	v_lshlrev_b32_e32 v6, 2, v3
	ds_load_b32 v23, v6 offset:1028
	v_add_nc_u32_e32 v6, 1, v3
; %bb.296:
	s_or_b32 exec_lo, exec_lo, s1
	v_dual_mov_b32 v7, v5 :: v_dual_mov_b32 v10, v4
	s_mov_b32 s1, exec_lo
	v_cmpx_ge_i32_e64 v9, v5
; %bb.297:
	v_dual_lshlrev_b32 v7, 2, v4 :: v_dual_add_nc_u32 v10, 1, v4
	ds_load_b32 v7, v7 offset:1028
; %bb.298:
	s_or_b32 exec_lo, exec_lo, s1
	s_wait_dscnt 0x0
	v_dual_mov_b32 v25, v23 :: v_dual_mov_b32 v11, v6
	s_mov_b32 s1, exec_lo
	v_cmpx_ge_i32_e64 v7, v23
; %bb.299:
	v_lshlrev_b32_e32 v11, 2, v6
	ds_load_b32 v25, v11 offset:1028
	v_add_nc_u32_e32 v11, 1, v6
; %bb.300:
	s_or_b32 exec_lo, exec_lo, s1
	v_dual_mov_b32 v12, v7 :: v_dual_mov_b32 v14, v10
	s_mov_b32 s1, exec_lo
	v_cmpx_ge_i32_e64 v23, v7
; %bb.301:
	v_dual_lshlrev_b32 v12, 2, v10 :: v_dual_add_nc_u32 v14, 1, v10
	ds_load_b32 v12, v12 offset:1028
	;; [unrolled: 18-line block ×5, first 2 shown]
; %bb.314:
	s_or_b32 exec_lo, exec_lo, s1
	s_wait_dscnt 0x0
	v_dual_mov_b32 v29, v28 :: v_dual_mov_b32 v40, v21
	s_mov_b32 s1, exec_lo
	v_cmpx_ge_i32_e64 v38, v28
; %bb.315:
	v_dual_lshlrev_b32 v29, 2, v21 :: v_dual_add_nc_u32 v40, 1, v21
	ds_load_b32 v29, v29 offset:1028
; %bb.316:
	s_or_b32 exec_lo, exec_lo, s1
	v_dual_mov_b32 v42, v38 :: v_dual_mov_b32 v41, v39
	s_mov_b32 s1, exec_lo
	v_cmpx_ge_i32_e64 v28, v38
; %bb.317:
	v_dual_lshlrev_b32 v30, 2, v39 :: v_dual_add_nc_u32 v41, 1, v39
	ds_load_b32 v42, v30 offset:1028
; %bb.318:
	s_or_b32 exec_lo, exec_lo, s1
	s_wait_dscnt 0x0
	v_dual_mov_b32 v30, v29 :: v_dual_mov_b32 v43, v40
	s_mov_b32 s1, exec_lo
	v_cmpx_ge_i32_e64 v42, v29
; %bb.319:
	v_dual_lshlrev_b32 v30, 2, v40 :: v_dual_add_nc_u32 v43, 1, v40
	ds_load_b32 v30, v30 offset:1028
; %bb.320:
	s_or_b32 exec_lo, exec_lo, s1
	v_dual_mov_b32 v44, v42 :: v_dual_mov_b32 v45, v41
	s_mov_b32 s1, exec_lo
	v_cmpx_ge_i32_e64 v29, v42
; %bb.321:
	v_dual_lshlrev_b32 v31, 2, v41 :: v_dual_add_nc_u32 v45, 1, v41
	ds_load_b32 v44, v31 offset:1028
	;; [unrolled: 17-line block ×8, first 2 shown]
; %bb.346:
	s_or_b32 exec_lo, exec_lo, s1
	s_wait_dscnt 0x0
	v_dual_mov_b32 v37, v36 :: v_dual_mov_b32 v64, v61
	s_mov_b32 s1, exec_lo
	v_cmpx_ge_i32_e64 v63, v36
; %bb.347:
	v_dual_lshlrev_b32 v37, 2, v61 :: v_dual_add_nc_u32 v64, 1, v61
	ds_load_b32 v37, v37 offset:1028
; %bb.348:
	s_or_b32 exec_lo, exec_lo, s1
	v_dual_mov_b32 v66, v63 :: v_dual_mov_b32 v65, v62
	s_mov_b32 s1, exec_lo
	v_cmpx_ge_i32_e64 v36, v63
; %bb.349:
	v_lshlrev_b32_e32 v65, 2, v62
	ds_load_b32 v66, v65 offset:1028
	v_add_nc_u32_e32 v65, 1, v62
; %bb.350:
	s_or_b32 exec_lo, exec_lo, s1
	v_and_b32_e32 v67, 0xffff, v13
	v_ashrrev_i32_e32 v13, 16, v13
	v_cmp_ne_u32_e64 s1, v63, v36
	v_cmp_ne_u32_e64 s17, v38, v28
	;; [unrolled: 1-line block ×3, first 2 shown]
	v_add_nc_u32_e32 v63, s24, v67
	v_cmp_ge_i32_e64 s14, v18, v13
	v_cmp_ge_i32_e64 s18, v11, v13
	;; [unrolled: 1-line block ×3, first 2 shown]
	v_cmp_gt_i32_e64 s22, v67, v1
	v_cmp_ge_i32_e64 s15, v20, v63
	v_cmp_ge_i32_e64 s19, v14, v63
	;; [unrolled: 1-line block ×5, first 2 shown]
	s_or_b32 s36, s14, s15
	v_cmp_ge_i32_e64 s14, v15, v13
	v_cmp_ge_i32_e64 s15, v17, v63
	s_or_b32 s38, s18, s19
	s_or_b32 s24, s20, s21
	v_cmp_ge_i32_e64 s19, v3, v13
	v_cmp_ge_i32_e64 s20, v4, v63
	s_or_b32 s37, s14, s15
	v_cmp_ne_u32_e64 s15, v7, v23
	v_cmp_gt_i32_e64 s21, v13, v0
	v_cmp_ne_u32_e64 s18, v5, v9
	s_or_b32 s19, s19, s20
	v_cmp_ge_i32_e64 s4, v61, v13
	s_or_b32 s24, s15, s24
	v_cmp_eq_u32_e64 s15, v2, v22
	s_and_b32 s20, s21, s22
	v_cmp_ge_i32_e64 s5, v58, v13
	v_cmp_ge_i32_e64 s7, v62, v63
	;; [unrolled: 1-line block ×5, first 2 shown]
	s_or_b32 s35, s12, s13
	v_cmp_ne_u32_e64 s13, v16, v26
	v_cmp_ne_u32_e64 s14, v12, v25
	s_or_b32 s18, s18, s19
	s_and_b32 s15, s20, s15
	v_cndmask_b32_e64 v0, 4, 0, s24
	v_cndmask_b32_e64 v1, 2, 0, s18
	;; [unrolled: 1-line block ×3, first 2 shown]
	v_cmp_ge_i32_e64 s3, v64, v13
	v_cmp_ge_i32_e64 s6, v65, v63
	s_or_b32 s26, s4, s7
	s_or_b32 s27, s5, s8
	;; [unrolled: 1-line block ×3, first 2 shown]
	v_cmp_ge_i32_e64 s7, v49, v13
	v_cmp_ge_i32_e64 s8, v51, v63
	;; [unrolled: 1-line block ×4, first 2 shown]
	v_cmp_ne_u32_e64 s12, v19, v27
	s_or_b32 s13, s13, s37
	s_or_b32 s14, s14, s38
	v_cndmask_b32_e64 v3, 16, 0, s13
	v_cndmask_b32_e64 v4, 8, 0, s14
	v_or3_b32 v0, v1, v2, v0
	s_or_b32 s25, s3, s6
	v_cmp_ge_i32_e64 s5, v52, v13
	v_cmp_ge_i32_e64 s6, v54, v63
	;; [unrolled: 1-line block ×4, first 2 shown]
	s_or_b32 s33, s7, s8
	s_or_b32 s34, s9, s10
	v_cmp_ge_i32_e64 s8, v43, v13
	v_cmp_ge_i32_e64 s9, v45, v63
	v_cmp_ne_u32_e64 s10, v42, v29
	s_or_b32 s17, s17, s35
	s_or_b32 s12, s12, s36
	v_cndmask_b32_e64 v1, 64, 0, s17
	v_cndmask_b32_e64 v2, 32, 0, s12
	v_or3_b32 v0, v0, v4, v3
	s_or_b32 s31, s5, s6
	v_cmp_ne_u32_e64 s6, v47, v31
	s_or_b32 s11, s11, s16
	v_cmp_ne_u32_e64 s7, v44, v30
	s_or_b32 s8, s8, s9
	s_or_b32 s9, s10, s11
	v_or3_b32 v43, v0, v2, v1
	v_cndmask_b32_e64 v3, 0x80, 0, s9
	v_cmp_ne_u32_e64 s4, v53, v33
	s_or_b32 s6, s6, s34
	v_cmp_ne_u32_e64 s5, v50, v32
	v_cndmask_b32_e64 v0, 0x200, 0, s6
	s_or_b32 s6, s7, s8
	v_dual_mov_b32 v11, 0 :: v_dual_bitop2_b32 v42, v3, v43 bitop3:0x54
	v_cndmask_b32_e64 v1, 0x100, 0, s6
	s_or_b32 s4, s4, s31
	v_cmp_ne_u32_e64 s3, v56, v34
	v_cndmask_b32_e64 v2, 0x800, 0, s4
	s_or_b32 s4, s5, s33
	v_or3_b32 v41, v1, v0, v42
	v_cndmask_b32_e64 v3, 0x400, 0, s4
	s_or_b32 s2, s2, s27
	s_wait_dscnt 0x0
	v_cmp_ne_u32_e32 vcc_lo, v66, v37
	v_cndmask_b32_e64 v0, 0x2000, 0, s2
	s_or_b32 s2, s3, s30
	v_or3_b32 v40, v3, v2, v41
	v_cndmask_b32_e64 v1, 0x1000, 0, s2
	s_or_b32 s2, vcc_lo, s25
	s_or_b32 s1, s1, s26
	v_cndmask_b32_e64 v2, 0x8000, 0, s2
	v_cndmask_b32_e64 v3, 0x4000, 0, s1
	v_or3_b32 v39, v1, v0, v40
	v_mbcnt_lo_u32_b32 v44, -1, 0
	s_mov_b32 s1, -1
	s_cmp_lg_u32 s23, 0
	s_delay_alu instid0(VALU_DEP_2) | instskip(SKIP_2) | instid1(VALU_DEP_1)
	v_or3_b32 v38, v3, v2, v39
	s_barrier_signal -1
	s_barrier_wait -1
	v_bcnt_u32_b32 v10, v38, 0
	s_cbranch_scc0 .LBB29_407
; %bb.351:
	s_delay_alu instid0(VALU_DEP_1)
	v_mov_b64_e32 v[2:3], v[10:11]
	v_dual_mov_b32 v0, v10 :: v_dual_bitop2_b32 v12, 15, v44 bitop3:0x40
	v_mov_b32_dpp v4, v10 row_shr:1 row_mask:0xf bank_mask:0xf
	v_mov_b32_dpp v7, v11 row_shr:1 row_mask:0xf bank_mask:0xf
	v_mov_b32_e32 v5, v11
	s_mov_b32 s1, exec_lo
	v_cmpx_ne_u32_e32 0, v12
; %bb.352:
	v_mov_b32_e32 v6, 0
	s_delay_alu instid0(VALU_DEP_1) | instskip(NEXT) | instid1(VALU_DEP_1)
	v_mov_b32_e32 v5, v6
	v_add_nc_u64_e32 v[0:1], v[4:5], v[10:11]
	s_delay_alu instid0(VALU_DEP_1) | instskip(NEXT) | instid1(VALU_DEP_1)
	v_add_nc_u64_e32 v[4:5], v[6:7], v[0:1]
	v_mov_b64_e32 v[2:3], v[4:5]
; %bb.353:
	s_or_b32 exec_lo, exec_lo, s1
	v_mov_b32_dpp v4, v0 row_shr:2 row_mask:0xf bank_mask:0xf
	v_mov_b32_dpp v7, v5 row_shr:2 row_mask:0xf bank_mask:0xf
	s_mov_b32 s1, exec_lo
	v_cmpx_lt_u32_e32 1, v12
; %bb.354:
	v_mov_b32_e32 v6, 0
	s_delay_alu instid0(VALU_DEP_1) | instskip(NEXT) | instid1(VALU_DEP_1)
	v_mov_b32_e32 v5, v6
	v_add_nc_u64_e32 v[0:1], v[2:3], v[4:5]
	s_delay_alu instid0(VALU_DEP_1) | instskip(NEXT) | instid1(VALU_DEP_1)
	v_add_nc_u64_e32 v[4:5], v[6:7], v[0:1]
	v_mov_b64_e32 v[2:3], v[4:5]
; %bb.355:
	s_or_b32 exec_lo, exec_lo, s1
	v_mov_b32_dpp v4, v0 row_shr:4 row_mask:0xf bank_mask:0xf
	v_mov_b32_dpp v7, v5 row_shr:4 row_mask:0xf bank_mask:0xf
	s_mov_b32 s1, exec_lo
	v_cmpx_lt_u32_e32 3, v12
	;; [unrolled: 14-line block ×3, first 2 shown]
; %bb.358:
	v_mov_b32_e32 v6, 0
	s_delay_alu instid0(VALU_DEP_1) | instskip(NEXT) | instid1(VALU_DEP_1)
	v_mov_b32_e32 v5, v6
	v_add_nc_u64_e32 v[0:1], v[2:3], v[4:5]
	s_delay_alu instid0(VALU_DEP_1) | instskip(NEXT) | instid1(VALU_DEP_1)
	v_add_nc_u64_e32 v[2:3], v[6:7], v[0:1]
	v_mov_b32_e32 v5, v3
; %bb.359:
	s_or_b32 exec_lo, exec_lo, s1
	ds_swizzle_b32 v4, v0 offset:swizzle(BROADCAST,32,15)
	ds_swizzle_b32 v7, v5 offset:swizzle(BROADCAST,32,15)
	v_and_b32_e32 v1, 16, v44
	s_mov_b32 s1, exec_lo
	s_delay_alu instid0(VALU_DEP_1)
	v_cmpx_ne_u32_e32 0, v1
	s_cbranch_execz .LBB29_361
; %bb.360:
	v_mov_b32_e32 v6, 0
	s_delay_alu instid0(VALU_DEP_1) | instskip(SKIP_1) | instid1(VALU_DEP_1)
	v_mov_b32_e32 v5, v6
	s_wait_dscnt 0x1
	v_add_nc_u64_e32 v[0:1], v[2:3], v[4:5]
	s_wait_dscnt 0x0
	s_delay_alu instid0(VALU_DEP_1)
	v_add_nc_u64_e32 v[2:3], v[6:7], v[0:1]
.LBB29_361:
	s_or_b32 exec_lo, exec_lo, s1
	v_and_b32_e32 v1, 0x3e0, v24
	s_mov_b32 s1, exec_lo
	s_delay_alu instid0(VALU_DEP_1) | instskip(SKIP_1) | instid1(VALU_DEP_1)
	v_min_u32_e32 v1, 0xe0, v1
	s_wait_dscnt 0x1
	v_dual_lshrrev_b32 v1, 5, v24 :: v_dual_bitop2_b32 v4, 31, v1 bitop3:0x54
	s_delay_alu instid0(VALU_DEP_1)
	v_cmpx_eq_u32_e64 v24, v4
; %bb.362:
	s_delay_alu instid0(VALU_DEP_2)
	v_lshlrev_b32_e32 v4, 3, v1
	ds_store_b64 v4, v[2:3]
; %bb.363:
	s_or_b32 exec_lo, exec_lo, s1
	s_delay_alu instid0(SALU_CYCLE_1)
	s_mov_b32 s1, exec_lo
	s_wait_dscnt 0x0
	s_barrier_signal -1
	s_barrier_wait -1
	v_cmpx_gt_u32_e32 8, v24
	s_cbranch_execz .LBB29_371
; %bb.364:
	v_lshlrev_b32_e32 v14, 3, v24
	v_and_b32_e32 v15, 7, v44
	s_mov_b32 s2, exec_lo
	ds_load_b64 v[2:3], v14
	s_wait_dscnt 0x0
	v_mov_b32_dpp v6, v2 row_shr:1 row_mask:0xf bank_mask:0xf
	v_mov_b32_dpp v13, v3 row_shr:1 row_mask:0xf bank_mask:0xf
	v_mov_b32_e32 v4, v2
	v_cmpx_ne_u32_e32 0, v15
; %bb.365:
	v_mov_b32_e32 v12, 0
	s_delay_alu instid0(VALU_DEP_1) | instskip(NEXT) | instid1(VALU_DEP_1)
	v_mov_b32_e32 v7, v12
	v_add_nc_u64_e32 v[4:5], v[2:3], v[6:7]
	s_delay_alu instid0(VALU_DEP_1)
	v_add_nc_u64_e32 v[2:3], v[12:13], v[4:5]
; %bb.366:
	s_or_b32 exec_lo, exec_lo, s2
	v_mov_b32_dpp v6, v4 row_shr:2 row_mask:0xf bank_mask:0xf
	s_delay_alu instid0(VALU_DEP_2)
	v_mov_b32_dpp v13, v3 row_shr:2 row_mask:0xf bank_mask:0xf
	s_mov_b32 s2, exec_lo
	v_cmpx_lt_u32_e32 1, v15
; %bb.367:
	v_mov_b32_e32 v12, 0
	s_delay_alu instid0(VALU_DEP_1) | instskip(NEXT) | instid1(VALU_DEP_1)
	v_mov_b32_e32 v7, v12
	v_add_nc_u64_e32 v[4:5], v[2:3], v[6:7]
	s_delay_alu instid0(VALU_DEP_1)
	v_add_nc_u64_e32 v[2:3], v[12:13], v[4:5]
; %bb.368:
	s_or_b32 exec_lo, exec_lo, s2
	v_mov_b32_dpp v4, v4 row_shr:4 row_mask:0xf bank_mask:0xf
	s_delay_alu instid0(VALU_DEP_2)
	v_mov_b32_dpp v7, v3 row_shr:4 row_mask:0xf bank_mask:0xf
	s_mov_b32 s2, exec_lo
	v_cmpx_lt_u32_e32 3, v15
; %bb.369:
	v_mov_b32_e32 v6, 0
	s_delay_alu instid0(VALU_DEP_1) | instskip(NEXT) | instid1(VALU_DEP_1)
	v_mov_b32_e32 v5, v6
	v_add_nc_u64_e32 v[2:3], v[2:3], v[4:5]
	s_delay_alu instid0(VALU_DEP_1)
	v_add_nc_u64_e32 v[2:3], v[2:3], v[6:7]
; %bb.370:
	s_or_b32 exec_lo, exec_lo, s2
	ds_store_b64 v14, v[2:3]
.LBB29_371:
	s_or_b32 exec_lo, exec_lo, s1
	s_delay_alu instid0(SALU_CYCLE_1)
	s_mov_b32 s2, exec_lo
	v_cmp_gt_u32_e32 vcc_lo, 32, v24
	s_wait_dscnt 0x0
	s_barrier_signal -1
	s_barrier_wait -1
                                        ; implicit-def: $vgpr12_vgpr13
	v_cmpx_lt_u32_e32 31, v24
	s_cbranch_execz .LBB29_373
; %bb.372:
	v_lshl_add_u32 v1, v1, 3, -8
	ds_load_b64 v[12:13], v1
	s_wait_dscnt 0x0
	v_add_nc_u32_e32 v0, v0, v12
.LBB29_373:
	s_or_b32 exec_lo, exec_lo, s2
	v_sub_co_u32 v1, s1, v44, 1
	s_delay_alu instid0(VALU_DEP_1) | instskip(NEXT) | instid1(VALU_DEP_1)
	v_cmp_gt_i32_e64 s2, 0, v1
	v_cndmask_b32_e64 v1, v1, v44, s2
	s_delay_alu instid0(VALU_DEP_1)
	v_lshlrev_b32_e32 v1, 2, v1
	ds_bpermute_b32 v45, v1, v0
	s_and_saveexec_b32 s2, vcc_lo
	s_cbranch_execz .LBB29_412
; %bb.374:
	v_mov_b32_e32 v3, 0
	ds_load_b64 v[0:1], v3 offset:56
	s_and_saveexec_b32 s3, s1
	s_cbranch_execz .LBB29_376
; %bb.375:
	s_add_co_i32 s4, s23, 32
	s_mov_b32 s5, 0
	v_mov_b32_e32 v2, 1
	s_lshl_b64 s[4:5], s[4:5], 4
	s_delay_alu instid0(SALU_CYCLE_1) | instskip(NEXT) | instid1(SALU_CYCLE_1)
	s_add_nc_u64 s[4:5], s[28:29], s[4:5]
	v_mov_b64_e32 v[4:5], s[4:5]
	s_wait_dscnt 0x0
	;;#ASMSTART
	global_store_b128 v[4:5], v[0:3] off scope:SCOPE_DEV	
s_wait_storecnt 0x0
	;;#ASMEND
.LBB29_376:
	s_or_b32 exec_lo, exec_lo, s3
	v_xad_u32 v14, v44, -1, s23
	s_mov_b32 s4, 0
	s_mov_b32 s3, exec_lo
	s_delay_alu instid0(VALU_DEP_1) | instskip(NEXT) | instid1(VALU_DEP_1)
	v_add_nc_u32_e32 v2, 32, v14
	v_lshl_add_u64 v[2:3], v[2:3], 4, s[28:29]
	;;#ASMSTART
	global_load_b128 v[4:7], v[2:3] off scope:SCOPE_DEV	
s_wait_loadcnt 0x0
	;;#ASMEND
	v_and_b32_e32 v7, 0xff, v6
	s_delay_alu instid0(VALU_DEP_1)
	v_cmpx_eq_u16_e32 0, v7
	s_cbranch_execz .LBB29_379
.LBB29_377:                             ; =>This Inner Loop Header: Depth=1
	;;#ASMSTART
	global_load_b128 v[4:7], v[2:3] off scope:SCOPE_DEV	
s_wait_loadcnt 0x0
	;;#ASMEND
	v_and_b32_e32 v7, 0xff, v6
	s_delay_alu instid0(VALU_DEP_1) | instskip(SKIP_1) | instid1(SALU_CYCLE_1)
	v_cmp_ne_u16_e32 vcc_lo, 0, v7
	s_or_b32 s4, vcc_lo, s4
	s_and_not1_b32 exec_lo, exec_lo, s4
	s_cbranch_execnz .LBB29_377
; %bb.378:
	s_or_b32 exec_lo, exec_lo, s4
.LBB29_379:
	s_delay_alu instid0(SALU_CYCLE_1)
	s_or_b32 exec_lo, exec_lo, s3
	v_cmp_ne_u32_e32 vcc_lo, 31, v44
	v_and_b32_e32 v3, 0xff, v6
	v_lshlrev_b32_e64 v47, v44, -1
	s_mov_b32 s3, exec_lo
	v_add_co_ci_u32_e64 v2, null, 0, v44, vcc_lo
	s_delay_alu instid0(VALU_DEP_3) | instskip(NEXT) | instid1(VALU_DEP_2)
	v_cmp_eq_u16_e32 vcc_lo, 2, v3
	v_lshlrev_b32_e32 v46, 2, v2
	v_and_or_b32 v2, vcc_lo, v47, 0x80000000
	s_delay_alu instid0(VALU_DEP_1)
	v_ctz_i32_b32_e32 v7, v2
	v_mov_b32_e32 v2, v4
	ds_bpermute_b32 v16, v46, v4
	ds_bpermute_b32 v19, v46, v5
	v_cmpx_lt_u32_e64 v44, v7
	s_cbranch_execz .LBB29_381
; %bb.380:
	v_mov_b32_e32 v18, 0
	s_delay_alu instid0(VALU_DEP_1) | instskip(SKIP_1) | instid1(VALU_DEP_1)
	v_mov_b32_e32 v17, v18
	s_wait_dscnt 0x1
	v_add_nc_u64_e32 v[2:3], v[4:5], v[16:17]
	s_wait_dscnt 0x0
	s_delay_alu instid0(VALU_DEP_1)
	v_add_nc_u64_e32 v[4:5], v[18:19], v[2:3]
.LBB29_381:
	s_or_b32 exec_lo, exec_lo, s3
	v_cmp_gt_u32_e32 vcc_lo, 30, v44
	v_add_nc_u32_e32 v49, 2, v44
	s_mov_b32 s3, exec_lo
	v_cndmask_b32_e64 v3, 0, 2, vcc_lo
	s_delay_alu instid0(VALU_DEP_1)
	v_add_lshl_u32 v48, v3, v44, 2
	s_wait_dscnt 0x1
	ds_bpermute_b32 v16, v48, v2
	s_wait_dscnt 0x1
	ds_bpermute_b32 v19, v48, v5
	v_cmpx_le_u32_e64 v49, v7
	s_cbranch_execz .LBB29_383
; %bb.382:
	v_mov_b32_e32 v18, 0
	s_delay_alu instid0(VALU_DEP_1) | instskip(SKIP_1) | instid1(VALU_DEP_1)
	v_mov_b32_e32 v17, v18
	s_wait_dscnt 0x1
	v_add_nc_u64_e32 v[2:3], v[4:5], v[16:17]
	s_wait_dscnt 0x0
	s_delay_alu instid0(VALU_DEP_1)
	v_add_nc_u64_e32 v[4:5], v[18:19], v[2:3]
.LBB29_383:
	s_or_b32 exec_lo, exec_lo, s3
	v_cmp_gt_u32_e32 vcc_lo, 28, v44
	v_add_nc_u32_e32 v51, 4, v44
	s_mov_b32 s3, exec_lo
	v_cndmask_b32_e64 v3, 0, 4, vcc_lo
	s_delay_alu instid0(VALU_DEP_1)
	v_add_lshl_u32 v50, v3, v44, 2
	s_wait_dscnt 0x1
	ds_bpermute_b32 v16, v50, v2
	s_wait_dscnt 0x1
	ds_bpermute_b32 v19, v50, v5
	v_cmpx_le_u32_e64 v51, v7
	;; [unrolled: 23-line block ×3, first 2 shown]
	s_cbranch_execz .LBB29_387
; %bb.386:
	v_mov_b32_e32 v18, 0
	s_delay_alu instid0(VALU_DEP_1) | instskip(SKIP_1) | instid1(VALU_DEP_1)
	v_mov_b32_e32 v17, v18
	s_wait_dscnt 0x1
	v_add_nc_u64_e32 v[2:3], v[4:5], v[16:17]
	s_wait_dscnt 0x0
	s_delay_alu instid0(VALU_DEP_1)
	v_add_nc_u64_e32 v[4:5], v[18:19], v[2:3]
.LBB29_387:
	s_or_b32 exec_lo, exec_lo, s3
	v_lshl_or_b32 v54, v44, 2, 64
	v_add_nc_u32_e32 v55, 16, v44
	s_mov_b32 s3, exec_lo
	ds_bpermute_b32 v2, v54, v2
	ds_bpermute_b32 v17, v54, v5
	v_cmpx_le_u32_e64 v55, v7
	s_cbranch_execz .LBB29_389
; %bb.388:
	s_wait_dscnt 0x3
	v_mov_b32_e32 v16, 0
	s_delay_alu instid0(VALU_DEP_1) | instskip(SKIP_1) | instid1(VALU_DEP_1)
	v_mov_b32_e32 v3, v16
	s_wait_dscnt 0x1
	v_add_nc_u64_e32 v[2:3], v[4:5], v[2:3]
	s_wait_dscnt 0x0
	s_delay_alu instid0(VALU_DEP_1)
	v_add_nc_u64_e32 v[4:5], v[2:3], v[16:17]
.LBB29_389:
	s_or_b32 exec_lo, exec_lo, s3
	v_mov_b32_e32 v15, 0
	s_branch .LBB29_392
.LBB29_390:                             ;   in Loop: Header=BB29_392 Depth=1
	s_or_b32 exec_lo, exec_lo, s3
	s_delay_alu instid0(VALU_DEP_1)
	v_add_nc_u64_e32 v[4:5], v[4:5], v[2:3]
	v_subrev_nc_u32_e32 v14, 32, v14
	s_mov_b32 s3, 0
.LBB29_391:                             ;   in Loop: Header=BB29_392 Depth=1
	s_delay_alu instid0(SALU_CYCLE_1)
	s_and_b32 vcc_lo, exec_lo, s3
	s_cbranch_vccnz .LBB29_408
.LBB29_392:                             ; =>This Loop Header: Depth=1
                                        ;     Child Loop BB29_395 Depth 2
	s_wait_dscnt 0x1
	v_and_b32_e32 v2, 0xff, v6
	s_mov_b32 s3, -1
	s_delay_alu instid0(VALU_DEP_1)
	v_cmp_ne_u16_e32 vcc_lo, 2, v2
	v_mov_b64_e32 v[2:3], v[4:5]
                                        ; implicit-def: $vgpr4_vgpr5
	s_cmp_lg_u32 vcc_lo, exec_lo
	s_cbranch_scc1 .LBB29_391
; %bb.393:                              ;   in Loop: Header=BB29_392 Depth=1
	s_wait_dscnt 0x0
	v_lshl_add_u64 v[16:17], v[14:15], 4, s[28:29]
	;;#ASMSTART
	global_load_b128 v[4:7], v[16:17] off scope:SCOPE_DEV	
s_wait_loadcnt 0x0
	;;#ASMEND
	v_and_b32_e32 v7, 0xff, v6
	s_mov_b32 s3, exec_lo
	s_delay_alu instid0(VALU_DEP_1)
	v_cmpx_eq_u16_e32 0, v7
	s_cbranch_execz .LBB29_397
; %bb.394:                              ;   in Loop: Header=BB29_392 Depth=1
	s_mov_b32 s4, 0
.LBB29_395:                             ;   Parent Loop BB29_392 Depth=1
                                        ; =>  This Inner Loop Header: Depth=2
	;;#ASMSTART
	global_load_b128 v[4:7], v[16:17] off scope:SCOPE_DEV	
s_wait_loadcnt 0x0
	;;#ASMEND
	v_and_b32_e32 v7, 0xff, v6
	s_delay_alu instid0(VALU_DEP_1) | instskip(SKIP_1) | instid1(SALU_CYCLE_1)
	v_cmp_ne_u16_e32 vcc_lo, 0, v7
	s_or_b32 s4, vcc_lo, s4
	s_and_not1_b32 exec_lo, exec_lo, s4
	s_cbranch_execnz .LBB29_395
; %bb.396:                              ;   in Loop: Header=BB29_392 Depth=1
	s_or_b32 exec_lo, exec_lo, s4
.LBB29_397:                             ;   in Loop: Header=BB29_392 Depth=1
	s_delay_alu instid0(SALU_CYCLE_1)
	s_or_b32 exec_lo, exec_lo, s3
	v_and_b32_e32 v7, 0xff, v6
	ds_bpermute_b32 v18, v46, v4
	ds_bpermute_b32 v21, v46, v5
	v_mov_b32_e32 v16, v4
	s_mov_b32 s3, exec_lo
	v_cmp_eq_u16_e32 vcc_lo, 2, v7
	v_and_or_b32 v7, vcc_lo, v47, 0x80000000
	s_delay_alu instid0(VALU_DEP_1) | instskip(NEXT) | instid1(VALU_DEP_1)
	v_ctz_i32_b32_e32 v7, v7
	v_cmpx_lt_u32_e64 v44, v7
	s_cbranch_execz .LBB29_399
; %bb.398:                              ;   in Loop: Header=BB29_392 Depth=1
	v_dual_mov_b32 v19, v15 :: v_dual_mov_b32 v20, v15
	s_wait_dscnt 0x1
	s_delay_alu instid0(VALU_DEP_1) | instskip(SKIP_1) | instid1(VALU_DEP_1)
	v_add_nc_u64_e32 v[16:17], v[4:5], v[18:19]
	s_wait_dscnt 0x0
	v_add_nc_u64_e32 v[4:5], v[20:21], v[16:17]
.LBB29_399:                             ;   in Loop: Header=BB29_392 Depth=1
	s_or_b32 exec_lo, exec_lo, s3
	ds_bpermute_b32 v20, v48, v16
	ds_bpermute_b32 v19, v48, v5
	s_mov_b32 s3, exec_lo
	v_cmpx_le_u32_e64 v49, v7
	s_cbranch_execz .LBB29_401
; %bb.400:                              ;   in Loop: Header=BB29_392 Depth=1
	s_wait_dscnt 0x2
	v_dual_mov_b32 v21, v15 :: v_dual_mov_b32 v18, v15
	s_wait_dscnt 0x1
	s_delay_alu instid0(VALU_DEP_1) | instskip(SKIP_1) | instid1(VALU_DEP_1)
	v_add_nc_u64_e32 v[16:17], v[4:5], v[20:21]
	s_wait_dscnt 0x0
	v_add_nc_u64_e32 v[4:5], v[18:19], v[16:17]
.LBB29_401:                             ;   in Loop: Header=BB29_392 Depth=1
	s_or_b32 exec_lo, exec_lo, s3
	s_wait_dscnt 0x1
	ds_bpermute_b32 v20, v50, v16
	s_wait_dscnt 0x1
	ds_bpermute_b32 v19, v50, v5
	s_mov_b32 s3, exec_lo
	v_cmpx_le_u32_e64 v51, v7
	s_cbranch_execz .LBB29_403
; %bb.402:                              ;   in Loop: Header=BB29_392 Depth=1
	v_dual_mov_b32 v21, v15 :: v_dual_mov_b32 v18, v15
	s_wait_dscnt 0x1
	s_delay_alu instid0(VALU_DEP_1) | instskip(SKIP_1) | instid1(VALU_DEP_1)
	v_add_nc_u64_e32 v[16:17], v[4:5], v[20:21]
	s_wait_dscnt 0x0
	v_add_nc_u64_e32 v[4:5], v[18:19], v[16:17]
.LBB29_403:                             ;   in Loop: Header=BB29_392 Depth=1
	s_or_b32 exec_lo, exec_lo, s3
	s_wait_dscnt 0x1
	ds_bpermute_b32 v20, v52, v16
	s_wait_dscnt 0x1
	ds_bpermute_b32 v19, v52, v5
	s_mov_b32 s3, exec_lo
	v_cmpx_le_u32_e64 v53, v7
	s_cbranch_execz .LBB29_405
; %bb.404:                              ;   in Loop: Header=BB29_392 Depth=1
	v_dual_mov_b32 v21, v15 :: v_dual_mov_b32 v18, v15
	s_wait_dscnt 0x1
	s_delay_alu instid0(VALU_DEP_1) | instskip(SKIP_1) | instid1(VALU_DEP_1)
	v_add_nc_u64_e32 v[16:17], v[4:5], v[20:21]
	s_wait_dscnt 0x0
	v_add_nc_u64_e32 v[4:5], v[18:19], v[16:17]
.LBB29_405:                             ;   in Loop: Header=BB29_392 Depth=1
	s_or_b32 exec_lo, exec_lo, s3
	ds_bpermute_b32 v18, v54, v16
	ds_bpermute_b32 v17, v54, v5
	s_mov_b32 s3, exec_lo
	v_cmpx_le_u32_e64 v55, v7
	s_cbranch_execz .LBB29_390
; %bb.406:                              ;   in Loop: Header=BB29_392 Depth=1
	s_wait_dscnt 0x2
	v_dual_mov_b32 v19, v15 :: v_dual_mov_b32 v16, v15
	s_wait_dscnt 0x1
	s_delay_alu instid0(VALU_DEP_1) | instskip(SKIP_1) | instid1(VALU_DEP_1)
	v_add_nc_u64_e32 v[4:5], v[4:5], v[18:19]
	s_wait_dscnt 0x0
	v_add_nc_u64_e32 v[4:5], v[4:5], v[16:17]
	s_branch .LBB29_390
.LBB29_407:
                                        ; implicit-def: $vgpr0_vgpr1
                                        ; implicit-def: $vgpr4_vgpr5
	s_and_b32 vcc_lo, exec_lo, s1
	s_cbranch_vccnz .LBB29_413
	s_branch .LBB29_438
.LBB29_408:
	s_and_saveexec_b32 s3, s1
	s_cbranch_execz .LBB29_410
; %bb.409:
	s_add_co_i32 s4, s23, 32
	s_mov_b32 s5, 0
	v_dual_mov_b32 v6, 2 :: v_dual_mov_b32 v7, 0
	s_lshl_b64 s[4:5], s[4:5], 4
	v_add_nc_u64_e32 v[4:5], v[2:3], v[0:1]
	s_add_nc_u64 s[4:5], s[28:29], s[4:5]
	s_delay_alu instid0(SALU_CYCLE_1)
	v_mov_b64_e32 v[14:15], s[4:5]
	;;#ASMSTART
	global_store_b128 v[14:15], v[4:7] off scope:SCOPE_DEV	
s_wait_storecnt 0x0
	;;#ASMEND
	ds_store_b128 v7, v[0:3] offset:64
.LBB29_410:
	s_or_b32 exec_lo, exec_lo, s3
	s_delay_alu instid0(SALU_CYCLE_1)
	s_and_b32 exec_lo, exec_lo, s0
; %bb.411:
	v_mov_b32_e32 v0, 0
	ds_store_b64 v0, v[2:3] offset:56
.LBB29_412:
	s_or_b32 exec_lo, exec_lo, s2
	v_mov_b32_e32 v0, 0
	s_wait_dscnt 0x0
	s_barrier_signal -1
	s_barrier_wait -1
	ds_load_b64 v[2:3], v0 offset:56
	s_wait_dscnt 0x0
	s_barrier_signal -1
	s_barrier_wait -1
	ds_load_b64 v[0:1], v0 offset:72
	s_wait_dscnt 0x0
	v_dual_cndmask_b32 v1, 0, v13, s1 :: v_dual_cndmask_b32 v4, v45, v12, s1
	s_delay_alu instid0(VALU_DEP_1) | instskip(NEXT) | instid1(VALU_DEP_2)
	v_cndmask_b32_e64 v5, v1, 0, s0
	v_cndmask_b32_e64 v4, v4, 0, s0
	s_delay_alu instid0(VALU_DEP_1)
	v_add_nc_u64_e32 v[4:5], v[2:3], v[4:5]
	s_branch .LBB29_438
.LBB29_413:
	v_dual_mov_b32 v3, 0 :: v_dual_bitop2_b32 v6, 15, v44 bitop3:0x40
	v_mov_b64_e32 v[0:1], v[10:11]
	v_mov_b32_dpp v2, v10 row_shr:1 row_mask:0xf bank_mask:0xf
	s_mov_b32 s1, exec_lo
	s_delay_alu instid0(VALU_DEP_3)
	v_mov_b32_dpp v5, v3 row_shr:1 row_mask:0xf bank_mask:0xf
	v_cmpx_ne_u32_e32 0, v6
; %bb.414:
	v_mov_b32_e32 v4, 0
	s_delay_alu instid0(VALU_DEP_1) | instskip(NEXT) | instid1(VALU_DEP_1)
	v_mov_b32_e32 v3, v4
	v_add_nc_u64_e32 v[10:11], v[2:3], v[10:11]
	s_delay_alu instid0(VALU_DEP_1) | instskip(NEXT) | instid1(VALU_DEP_1)
	v_add_nc_u64_e32 v[2:3], v[4:5], v[10:11]
	v_mov_b64_e32 v[0:1], v[2:3]
; %bb.415:
	s_or_b32 exec_lo, exec_lo, s1
	v_mov_b32_dpp v2, v10 row_shr:2 row_mask:0xf bank_mask:0xf
	v_mov_b32_dpp v5, v3 row_shr:2 row_mask:0xf bank_mask:0xf
	s_mov_b32 s1, exec_lo
	v_cmpx_lt_u32_e32 1, v6
; %bb.416:
	v_mov_b32_e32 v4, 0
	s_delay_alu instid0(VALU_DEP_1) | instskip(NEXT) | instid1(VALU_DEP_1)
	v_mov_b32_e32 v3, v4
	v_add_nc_u64_e32 v[10:11], v[0:1], v[2:3]
	s_delay_alu instid0(VALU_DEP_1) | instskip(NEXT) | instid1(VALU_DEP_1)
	v_add_nc_u64_e32 v[2:3], v[4:5], v[10:11]
	v_mov_b64_e32 v[0:1], v[2:3]
; %bb.417:
	s_or_b32 exec_lo, exec_lo, s1
	v_mov_b32_dpp v2, v10 row_shr:4 row_mask:0xf bank_mask:0xf
	v_mov_b32_dpp v5, v3 row_shr:4 row_mask:0xf bank_mask:0xf
	s_mov_b32 s1, exec_lo
	v_cmpx_lt_u32_e32 3, v6
	;; [unrolled: 14-line block ×3, first 2 shown]
; %bb.420:
	v_mov_b32_e32 v4, 0
	s_delay_alu instid0(VALU_DEP_1) | instskip(NEXT) | instid1(VALU_DEP_1)
	v_mov_b32_e32 v3, v4
	v_add_nc_u64_e32 v[10:11], v[0:1], v[2:3]
	s_delay_alu instid0(VALU_DEP_1) | instskip(NEXT) | instid1(VALU_DEP_1)
	v_add_nc_u64_e32 v[0:1], v[4:5], v[10:11]
	v_mov_b32_e32 v3, v1
; %bb.421:
	s_or_b32 exec_lo, exec_lo, s1
	ds_swizzle_b32 v2, v10 offset:swizzle(BROADCAST,32,15)
	ds_swizzle_b32 v5, v3 offset:swizzle(BROADCAST,32,15)
	v_and_b32_e32 v3, 16, v44
	s_mov_b32 s1, exec_lo
	s_delay_alu instid0(VALU_DEP_1)
	v_cmpx_ne_u32_e32 0, v3
	s_cbranch_execz .LBB29_423
; %bb.422:
	v_mov_b32_e32 v4, 0
	s_delay_alu instid0(VALU_DEP_1) | instskip(SKIP_1) | instid1(VALU_DEP_1)
	v_mov_b32_e32 v3, v4
	s_wait_dscnt 0x1
	v_add_nc_u64_e32 v[10:11], v[0:1], v[2:3]
	s_wait_dscnt 0x0
	s_delay_alu instid0(VALU_DEP_1)
	v_add_nc_u64_e32 v[0:1], v[4:5], v[10:11]
.LBB29_423:
	s_or_b32 exec_lo, exec_lo, s1
	s_wait_dscnt 0x1
	v_and_b32_e32 v2, 0x3e0, v24
	s_mov_b32 s1, exec_lo
	v_lshrrev_b32_e32 v11, 5, v24
	s_delay_alu instid0(VALU_DEP_2) | instskip(NEXT) | instid1(VALU_DEP_1)
	v_min_u32_e32 v2, 0xe0, v2
	v_or_b32_e32 v2, 31, v2
	s_delay_alu instid0(VALU_DEP_1)
	v_cmpx_eq_u32_e64 v24, v2
; %bb.424:
	s_delay_alu instid0(VALU_DEP_4)
	v_lshlrev_b32_e32 v2, 3, v11
	ds_store_b64 v2, v[0:1]
; %bb.425:
	s_or_b32 exec_lo, exec_lo, s1
	s_delay_alu instid0(SALU_CYCLE_1)
	s_mov_b32 s1, exec_lo
	s_wait_dscnt 0x0
	s_barrier_signal -1
	s_barrier_wait -1
	v_cmpx_gt_u32_e32 8, v24
	s_cbranch_execz .LBB29_433
; %bb.426:
	v_add_nc_u32_e32 v8, v8, v8
	s_mov_b32 s2, exec_lo
	ds_load_b64 v[0:1], v8
	s_wait_dscnt 0x0
	v_dual_mov_b32 v2, v0 :: v_dual_bitop2_b32 v12, 7, v44 bitop3:0x40
	v_mov_b32_dpp v4, v0 row_shr:1 row_mask:0xf bank_mask:0xf
	v_mov_b32_dpp v7, v1 row_shr:1 row_mask:0xf bank_mask:0xf
	s_delay_alu instid0(VALU_DEP_3)
	v_cmpx_ne_u32_e32 0, v12
; %bb.427:
	v_mov_b32_e32 v6, 0
	s_delay_alu instid0(VALU_DEP_1) | instskip(NEXT) | instid1(VALU_DEP_1)
	v_mov_b32_e32 v5, v6
	v_add_nc_u64_e32 v[2:3], v[0:1], v[4:5]
	s_delay_alu instid0(VALU_DEP_1)
	v_add_nc_u64_e32 v[0:1], v[6:7], v[2:3]
; %bb.428:
	s_or_b32 exec_lo, exec_lo, s2
	v_mov_b32_dpp v4, v2 row_shr:2 row_mask:0xf bank_mask:0xf
	s_delay_alu instid0(VALU_DEP_2)
	v_mov_b32_dpp v7, v1 row_shr:2 row_mask:0xf bank_mask:0xf
	s_mov_b32 s2, exec_lo
	v_cmpx_lt_u32_e32 1, v12
; %bb.429:
	v_mov_b32_e32 v6, 0
	s_delay_alu instid0(VALU_DEP_1) | instskip(NEXT) | instid1(VALU_DEP_1)
	v_mov_b32_e32 v5, v6
	v_add_nc_u64_e32 v[2:3], v[0:1], v[4:5]
	s_delay_alu instid0(VALU_DEP_1)
	v_add_nc_u64_e32 v[0:1], v[6:7], v[2:3]
; %bb.430:
	s_or_b32 exec_lo, exec_lo, s2
	v_mov_b32_dpp v2, v2 row_shr:4 row_mask:0xf bank_mask:0xf
	s_delay_alu instid0(VALU_DEP_2)
	v_mov_b32_dpp v5, v1 row_shr:4 row_mask:0xf bank_mask:0xf
	s_mov_b32 s2, exec_lo
	v_cmpx_lt_u32_e32 3, v12
; %bb.431:
	v_mov_b32_e32 v4, 0
	s_delay_alu instid0(VALU_DEP_1) | instskip(NEXT) | instid1(VALU_DEP_1)
	v_mov_b32_e32 v3, v4
	v_add_nc_u64_e32 v[0:1], v[0:1], v[2:3]
	s_delay_alu instid0(VALU_DEP_1)
	v_add_nc_u64_e32 v[0:1], v[0:1], v[4:5]
; %bb.432:
	s_or_b32 exec_lo, exec_lo, s2
	ds_store_b64 v8, v[0:1]
.LBB29_433:
	s_or_b32 exec_lo, exec_lo, s1
	v_mov_b64_e32 v[0:1], 0
	s_mov_b32 s1, exec_lo
	s_wait_dscnt 0x0
	s_barrier_signal -1
	s_barrier_wait -1
	v_cmpx_lt_u32_e32 31, v24
; %bb.434:
	v_lshl_add_u32 v0, v11, 3, -8
	ds_load_b64 v[0:1], v0
; %bb.435:
	s_or_b32 exec_lo, exec_lo, s1
	s_wait_dscnt 0x0
	v_sub_co_u32 v1, vcc_lo, v44, 1
	v_mov_b32_e32 v3, 0
	s_delay_alu instid0(VALU_DEP_2) | instskip(NEXT) | instid1(VALU_DEP_1)
	v_cmp_gt_i32_e64 s1, 0, v1
	v_cndmask_b32_e64 v1, v1, v44, s1
	s_delay_alu instid0(VALU_DEP_1)
	v_dual_add_nc_u32 v2, v10, v0 :: v_dual_lshlrev_b32 v1, 2, v1
	ds_bpermute_b32 v1, v1, v2
	s_wait_dscnt 0x0
	v_cndmask_b32_e32 v4, v1, v0, vcc_lo
	s_and_saveexec_b32 s1, s0
	s_cbranch_execz .LBB29_437
; %bb.436:
	s_add_nc_u64 s[2:3], s[28:29], 0x200
	ds_load_b64 v[0:1], v3 offset:56
	v_mov_b32_e32 v2, 2
	v_mov_b64_e32 v[6:7], s[2:3]
	s_wait_dscnt 0x0
	;;#ASMSTART
	global_store_b128 v[6:7], v[0:3] off scope:SCOPE_DEV	
s_wait_storecnt 0x0
	;;#ASMEND
.LBB29_437:
	s_or_b32 exec_lo, exec_lo, s1
	v_mov_b64_e32 v[0:1], 0
.LBB29_438:
	s_delay_alu instid0(VALU_DEP_1)
	v_sub_nc_u32_e32 v0, v4, v0
	s_xor_b32 s0, s12, -1
	s_xor_b32 s1, s13, -1
	;; [unrolled: 1-line block ×5, first 2 shown]
	s_barrier_signal -1
	s_barrier_wait -1
	s_and_saveexec_b32 s5, s15
	s_cbranch_execnz .LBB29_466
; %bb.439:
	s_or_b32 exec_lo, exec_lo, s5
	s_and_saveexec_b32 s5, s4
	s_cbranch_execnz .LBB29_467
.LBB29_440:
	s_or_b32 exec_lo, exec_lo, s5
	s_and_saveexec_b32 s4, s3
	s_cbranch_execnz .LBB29_468
.LBB29_441:
	s_or_b32 exec_lo, exec_lo, s4
	s_and_saveexec_b32 s3, s2
	s_cbranch_execnz .LBB29_469
.LBB29_442:
	s_or_b32 exec_lo, exec_lo, s3
	s_and_saveexec_b32 s2, s1
	s_cbranch_execnz .LBB29_470
.LBB29_443:
	s_or_b32 exec_lo, exec_lo, s2
	s_and_saveexec_b32 s1, s0
.LBB29_444:
	v_dual_lshlrev_b32 v1, 2, v0 :: v_dual_add_nc_u32 v0, 1, v0
	ds_store_b32 v1, v27 offset:1024
.LBB29_445:
	s_or_b32 exec_lo, exec_lo, s1
	v_and_b32_e32 v1, 64, v43
	s_mov_b32 s0, exec_lo
	s_delay_alu instid0(VALU_DEP_1)
	v_cmpx_ne_u32_e32 0, v1
; %bb.446:
	v_dual_lshlrev_b32 v1, 2, v0 :: v_dual_add_nc_u32 v0, 1, v0
	ds_store_b32 v1, v28 offset:1024
; %bb.447:
	s_or_b32 exec_lo, exec_lo, s0
	v_and_b32_e32 v1, 0x80, v42
	s_mov_b32 s0, exec_lo
	s_delay_alu instid0(VALU_DEP_1)
	v_cmpx_ne_u32_e32 0, v1
; %bb.448:
	v_dual_lshlrev_b32 v1, 2, v0 :: v_dual_add_nc_u32 v0, 1, v0
	ds_store_b32 v1, v29 offset:1024
; %bb.449:
	;; [unrolled: 9-line block ×9, first 2 shown]
	s_or_b32 exec_lo, exec_lo, s0
	v_and_b32_e32 v1, 0x8000, v38
	s_mov_b32 s0, exec_lo
	s_delay_alu instid0(VALU_DEP_1)
	v_cmpx_ne_u32_e32 0, v1
; %bb.464:
	v_lshlrev_b32_e32 v0, 2, v0
	ds_store_b32 v0, v37 offset:1024
; %bb.465:
	s_or_b32 exec_lo, exec_lo, s0
	s_wait_dscnt 0x0
	s_barrier_signal -1
	s_barrier_wait -1
	s_endpgm
.LBB29_466:
	v_dual_add_nc_u32 v1, 1, v0 :: v_dual_lshlrev_b32 v2, 2, v0
	s_delay_alu instid0(VALU_DEP_1)
	v_mov_b32_e32 v0, v1
	ds_store_b32 v2, v22 offset:1024
	s_or_b32 exec_lo, exec_lo, s5
	s_and_saveexec_b32 s5, s4
	s_cbranch_execz .LBB29_440
.LBB29_467:
	v_dual_lshlrev_b32 v1, 2, v0 :: v_dual_add_nc_u32 v0, 1, v0
	ds_store_b32 v1, v9 offset:1024
	s_or_b32 exec_lo, exec_lo, s5
	s_and_saveexec_b32 s4, s3
	s_cbranch_execz .LBB29_441
.LBB29_468:
	v_dual_lshlrev_b32 v1, 2, v0 :: v_dual_add_nc_u32 v0, 1, v0
	ds_store_b32 v1, v23 offset:1024
	s_or_b32 exec_lo, exec_lo, s4
	s_and_saveexec_b32 s3, s2
	s_cbranch_execz .LBB29_442
.LBB29_469:
	v_dual_lshlrev_b32 v1, 2, v0 :: v_dual_add_nc_u32 v0, 1, v0
	ds_store_b32 v1, v25 offset:1024
	s_or_b32 exec_lo, exec_lo, s3
	s_and_saveexec_b32 s2, s1
	s_cbranch_execz .LBB29_443
.LBB29_470:
	v_dual_lshlrev_b32 v1, 2, v0 :: v_dual_add_nc_u32 v0, 1, v0
	ds_store_b32 v1, v26 offset:1024
	s_or_b32 exec_lo, exec_lo, s2
	s_and_saveexec_b32 s1, s0
	s_cbranch_execnz .LBB29_444
	s_branch .LBB29_445
	.section	.rodata,"a",@progbits
	.p2align	6, 0x0
	.amdhsa_kernel _ZN6thrust23THRUST_200600_302600_NS11hip_rocprim16__set_operations22lookback_set_op_kernelIN7rocprim17ROCPRIM_400000_NS13kernel_configILj256ELj16ELj4294967295EEELb0ENS0_6detail15normal_iteratorINS0_10device_ptrIKiEEEESD_PiSE_lNS0_16discard_iteratorINS0_11use_defaultEEESE_NS0_4lessIiEENS2_23serial_set_intersectionENS5_6detail19lookback_scan_stateIlLb0ELb1EEEEEvT1_T2_T3_T4_T6_T7_T8_T9_PNS0_4pairIT5_SX_EEPSX_T10_NSL_16ordered_block_idIjEE
		.amdhsa_group_segment_fixed_size 36868
		.amdhsa_private_segment_fixed_size 0
		.amdhsa_kernarg_size 352
		.amdhsa_user_sgpr_count 2
		.amdhsa_user_sgpr_dispatch_ptr 0
		.amdhsa_user_sgpr_queue_ptr 0
		.amdhsa_user_sgpr_kernarg_segment_ptr 1
		.amdhsa_user_sgpr_dispatch_id 0
		.amdhsa_user_sgpr_kernarg_preload_length 0
		.amdhsa_user_sgpr_kernarg_preload_offset 0
		.amdhsa_user_sgpr_private_segment_size 0
		.amdhsa_wavefront_size32 1
		.amdhsa_uses_dynamic_stack 0
		.amdhsa_enable_private_segment 0
		.amdhsa_system_sgpr_workgroup_id_x 1
		.amdhsa_system_sgpr_workgroup_id_y 0
		.amdhsa_system_sgpr_workgroup_id_z 0
		.amdhsa_system_sgpr_workgroup_info 0
		.amdhsa_system_vgpr_workitem_id 2
		.amdhsa_next_free_vgpr 74
		.amdhsa_next_free_sgpr 42
		.amdhsa_named_barrier_count 0
		.amdhsa_reserve_vcc 1
		.amdhsa_float_round_mode_32 0
		.amdhsa_float_round_mode_16_64 0
		.amdhsa_float_denorm_mode_32 3
		.amdhsa_float_denorm_mode_16_64 3
		.amdhsa_fp16_overflow 0
		.amdhsa_memory_ordered 1
		.amdhsa_forward_progress 1
		.amdhsa_inst_pref_size 144
		.amdhsa_round_robin_scheduling 0
		.amdhsa_exception_fp_ieee_invalid_op 0
		.amdhsa_exception_fp_denorm_src 0
		.amdhsa_exception_fp_ieee_div_zero 0
		.amdhsa_exception_fp_ieee_overflow 0
		.amdhsa_exception_fp_ieee_underflow 0
		.amdhsa_exception_fp_ieee_inexact 0
		.amdhsa_exception_int_div_zero 0
	.end_amdhsa_kernel
	.section	.text._ZN6thrust23THRUST_200600_302600_NS11hip_rocprim16__set_operations22lookback_set_op_kernelIN7rocprim17ROCPRIM_400000_NS13kernel_configILj256ELj16ELj4294967295EEELb0ENS0_6detail15normal_iteratorINS0_10device_ptrIKiEEEESD_PiSE_lNS0_16discard_iteratorINS0_11use_defaultEEESE_NS0_4lessIiEENS2_23serial_set_intersectionENS5_6detail19lookback_scan_stateIlLb0ELb1EEEEEvT1_T2_T3_T4_T6_T7_T8_T9_PNS0_4pairIT5_SX_EEPSX_T10_NSL_16ordered_block_idIjEE,"axG",@progbits,_ZN6thrust23THRUST_200600_302600_NS11hip_rocprim16__set_operations22lookback_set_op_kernelIN7rocprim17ROCPRIM_400000_NS13kernel_configILj256ELj16ELj4294967295EEELb0ENS0_6detail15normal_iteratorINS0_10device_ptrIKiEEEESD_PiSE_lNS0_16discard_iteratorINS0_11use_defaultEEESE_NS0_4lessIiEENS2_23serial_set_intersectionENS5_6detail19lookback_scan_stateIlLb0ELb1EEEEEvT1_T2_T3_T4_T6_T7_T8_T9_PNS0_4pairIT5_SX_EEPSX_T10_NSL_16ordered_block_idIjEE,comdat
.Lfunc_end29:
	.size	_ZN6thrust23THRUST_200600_302600_NS11hip_rocprim16__set_operations22lookback_set_op_kernelIN7rocprim17ROCPRIM_400000_NS13kernel_configILj256ELj16ELj4294967295EEELb0ENS0_6detail15normal_iteratorINS0_10device_ptrIKiEEEESD_PiSE_lNS0_16discard_iteratorINS0_11use_defaultEEESE_NS0_4lessIiEENS2_23serial_set_intersectionENS5_6detail19lookback_scan_stateIlLb0ELb1EEEEEvT1_T2_T3_T4_T6_T7_T8_T9_PNS0_4pairIT5_SX_EEPSX_T10_NSL_16ordered_block_idIjEE, .Lfunc_end29-_ZN6thrust23THRUST_200600_302600_NS11hip_rocprim16__set_operations22lookback_set_op_kernelIN7rocprim17ROCPRIM_400000_NS13kernel_configILj256ELj16ELj4294967295EEELb0ENS0_6detail15normal_iteratorINS0_10device_ptrIKiEEEESD_PiSE_lNS0_16discard_iteratorINS0_11use_defaultEEESE_NS0_4lessIiEENS2_23serial_set_intersectionENS5_6detail19lookback_scan_stateIlLb0ELb1EEEEEvT1_T2_T3_T4_T6_T7_T8_T9_PNS0_4pairIT5_SX_EEPSX_T10_NSL_16ordered_block_idIjEE
                                        ; -- End function
	.set _ZN6thrust23THRUST_200600_302600_NS11hip_rocprim16__set_operations22lookback_set_op_kernelIN7rocprim17ROCPRIM_400000_NS13kernel_configILj256ELj16ELj4294967295EEELb0ENS0_6detail15normal_iteratorINS0_10device_ptrIKiEEEESD_PiSE_lNS0_16discard_iteratorINS0_11use_defaultEEESE_NS0_4lessIiEENS2_23serial_set_intersectionENS5_6detail19lookback_scan_stateIlLb0ELb1EEEEEvT1_T2_T3_T4_T6_T7_T8_T9_PNS0_4pairIT5_SX_EEPSX_T10_NSL_16ordered_block_idIjEE.num_vgpr, 74
	.set _ZN6thrust23THRUST_200600_302600_NS11hip_rocprim16__set_operations22lookback_set_op_kernelIN7rocprim17ROCPRIM_400000_NS13kernel_configILj256ELj16ELj4294967295EEELb0ENS0_6detail15normal_iteratorINS0_10device_ptrIKiEEEESD_PiSE_lNS0_16discard_iteratorINS0_11use_defaultEEESE_NS0_4lessIiEENS2_23serial_set_intersectionENS5_6detail19lookback_scan_stateIlLb0ELb1EEEEEvT1_T2_T3_T4_T6_T7_T8_T9_PNS0_4pairIT5_SX_EEPSX_T10_NSL_16ordered_block_idIjEE.num_agpr, 0
	.set _ZN6thrust23THRUST_200600_302600_NS11hip_rocprim16__set_operations22lookback_set_op_kernelIN7rocprim17ROCPRIM_400000_NS13kernel_configILj256ELj16ELj4294967295EEELb0ENS0_6detail15normal_iteratorINS0_10device_ptrIKiEEEESD_PiSE_lNS0_16discard_iteratorINS0_11use_defaultEEESE_NS0_4lessIiEENS2_23serial_set_intersectionENS5_6detail19lookback_scan_stateIlLb0ELb1EEEEEvT1_T2_T3_T4_T6_T7_T8_T9_PNS0_4pairIT5_SX_EEPSX_T10_NSL_16ordered_block_idIjEE.numbered_sgpr, 42
	.set _ZN6thrust23THRUST_200600_302600_NS11hip_rocprim16__set_operations22lookback_set_op_kernelIN7rocprim17ROCPRIM_400000_NS13kernel_configILj256ELj16ELj4294967295EEELb0ENS0_6detail15normal_iteratorINS0_10device_ptrIKiEEEESD_PiSE_lNS0_16discard_iteratorINS0_11use_defaultEEESE_NS0_4lessIiEENS2_23serial_set_intersectionENS5_6detail19lookback_scan_stateIlLb0ELb1EEEEEvT1_T2_T3_T4_T6_T7_T8_T9_PNS0_4pairIT5_SX_EEPSX_T10_NSL_16ordered_block_idIjEE.num_named_barrier, 0
	.set _ZN6thrust23THRUST_200600_302600_NS11hip_rocprim16__set_operations22lookback_set_op_kernelIN7rocprim17ROCPRIM_400000_NS13kernel_configILj256ELj16ELj4294967295EEELb0ENS0_6detail15normal_iteratorINS0_10device_ptrIKiEEEESD_PiSE_lNS0_16discard_iteratorINS0_11use_defaultEEESE_NS0_4lessIiEENS2_23serial_set_intersectionENS5_6detail19lookback_scan_stateIlLb0ELb1EEEEEvT1_T2_T3_T4_T6_T7_T8_T9_PNS0_4pairIT5_SX_EEPSX_T10_NSL_16ordered_block_idIjEE.private_seg_size, 0
	.set _ZN6thrust23THRUST_200600_302600_NS11hip_rocprim16__set_operations22lookback_set_op_kernelIN7rocprim17ROCPRIM_400000_NS13kernel_configILj256ELj16ELj4294967295EEELb0ENS0_6detail15normal_iteratorINS0_10device_ptrIKiEEEESD_PiSE_lNS0_16discard_iteratorINS0_11use_defaultEEESE_NS0_4lessIiEENS2_23serial_set_intersectionENS5_6detail19lookback_scan_stateIlLb0ELb1EEEEEvT1_T2_T3_T4_T6_T7_T8_T9_PNS0_4pairIT5_SX_EEPSX_T10_NSL_16ordered_block_idIjEE.uses_vcc, 1
	.set _ZN6thrust23THRUST_200600_302600_NS11hip_rocprim16__set_operations22lookback_set_op_kernelIN7rocprim17ROCPRIM_400000_NS13kernel_configILj256ELj16ELj4294967295EEELb0ENS0_6detail15normal_iteratorINS0_10device_ptrIKiEEEESD_PiSE_lNS0_16discard_iteratorINS0_11use_defaultEEESE_NS0_4lessIiEENS2_23serial_set_intersectionENS5_6detail19lookback_scan_stateIlLb0ELb1EEEEEvT1_T2_T3_T4_T6_T7_T8_T9_PNS0_4pairIT5_SX_EEPSX_T10_NSL_16ordered_block_idIjEE.uses_flat_scratch, 0
	.set _ZN6thrust23THRUST_200600_302600_NS11hip_rocprim16__set_operations22lookback_set_op_kernelIN7rocprim17ROCPRIM_400000_NS13kernel_configILj256ELj16ELj4294967295EEELb0ENS0_6detail15normal_iteratorINS0_10device_ptrIKiEEEESD_PiSE_lNS0_16discard_iteratorINS0_11use_defaultEEESE_NS0_4lessIiEENS2_23serial_set_intersectionENS5_6detail19lookback_scan_stateIlLb0ELb1EEEEEvT1_T2_T3_T4_T6_T7_T8_T9_PNS0_4pairIT5_SX_EEPSX_T10_NSL_16ordered_block_idIjEE.has_dyn_sized_stack, 0
	.set _ZN6thrust23THRUST_200600_302600_NS11hip_rocprim16__set_operations22lookback_set_op_kernelIN7rocprim17ROCPRIM_400000_NS13kernel_configILj256ELj16ELj4294967295EEELb0ENS0_6detail15normal_iteratorINS0_10device_ptrIKiEEEESD_PiSE_lNS0_16discard_iteratorINS0_11use_defaultEEESE_NS0_4lessIiEENS2_23serial_set_intersectionENS5_6detail19lookback_scan_stateIlLb0ELb1EEEEEvT1_T2_T3_T4_T6_T7_T8_T9_PNS0_4pairIT5_SX_EEPSX_T10_NSL_16ordered_block_idIjEE.has_recursion, 0
	.set _ZN6thrust23THRUST_200600_302600_NS11hip_rocprim16__set_operations22lookback_set_op_kernelIN7rocprim17ROCPRIM_400000_NS13kernel_configILj256ELj16ELj4294967295EEELb0ENS0_6detail15normal_iteratorINS0_10device_ptrIKiEEEESD_PiSE_lNS0_16discard_iteratorINS0_11use_defaultEEESE_NS0_4lessIiEENS2_23serial_set_intersectionENS5_6detail19lookback_scan_stateIlLb0ELb1EEEEEvT1_T2_T3_T4_T6_T7_T8_T9_PNS0_4pairIT5_SX_EEPSX_T10_NSL_16ordered_block_idIjEE.has_indirect_call, 0
	.section	.AMDGPU.csdata,"",@progbits
; Kernel info:
; codeLenInByte = 18368
; TotalNumSgprs: 44
; NumVgprs: 74
; ScratchSize: 0
; MemoryBound: 0
; FloatMode: 240
; IeeeMode: 1
; LDSByteSize: 36868 bytes/workgroup (compile time only)
; SGPRBlocks: 0
; VGPRBlocks: 4
; NumSGPRsForWavesPerEU: 44
; NumVGPRsForWavesPerEU: 74
; NamedBarCnt: 0
; Occupancy: 12
; WaveLimiterHint : 1
; COMPUTE_PGM_RSRC2:SCRATCH_EN: 0
; COMPUTE_PGM_RSRC2:USER_SGPR: 2
; COMPUTE_PGM_RSRC2:TRAP_HANDLER: 0
; COMPUTE_PGM_RSRC2:TGID_X_EN: 1
; COMPUTE_PGM_RSRC2:TGID_Y_EN: 0
; COMPUTE_PGM_RSRC2:TGID_Z_EN: 0
; COMPUTE_PGM_RSRC2:TIDIG_COMP_CNT: 2
	.section	.AMDGPU.gpr_maximums,"",@progbits
	.set amdgpu.max_num_vgpr, 0
	.set amdgpu.max_num_agpr, 0
	.set amdgpu.max_num_sgpr, 0
	.section	.AMDGPU.csdata,"",@progbits
	.type	__hip_cuid_4a1836859f2e4f2,@object ; @__hip_cuid_4a1836859f2e4f2
	.section	.bss,"aw",@nobits
	.globl	__hip_cuid_4a1836859f2e4f2
__hip_cuid_4a1836859f2e4f2:
	.byte	0                               ; 0x0
	.size	__hip_cuid_4a1836859f2e4f2, 1

	.ident	"AMD clang version 22.0.0git (https://github.com/RadeonOpenCompute/llvm-project roc-7.2.4 26084 f58b06dce1f9c15707c5f808fd002e18c2accf7e)"
	.section	".note.GNU-stack","",@progbits
	.addrsig
	.addrsig_sym __hip_cuid_4a1836859f2e4f2
	.amdgpu_metadata
---
amdhsa.kernels:
  - .args:
      - .offset:         0
        .size:           16
        .value_kind:     by_value
      - .offset:         16
        .size:           8
        .value_kind:     by_value
      - .offset:         24
        .size:           8
        .value_kind:     by_value
    .group_segment_fixed_size: 0
    .kernarg_segment_align: 8
    .kernarg_segment_size: 32
    .language:       OpenCL C
    .language_version:
      - 2
      - 0
    .max_flat_workgroup_size: 256
    .name:           _ZN6thrust23THRUST_200600_302600_NS11hip_rocprim14__parallel_for6kernelILj256ENS1_20__uninitialized_fill7functorINS0_10device_ptrIiEEiEEmLj1EEEvT0_T1_SA_
    .private_segment_fixed_size: 0
    .sgpr_count:     14
    .sgpr_spill_count: 0
    .symbol:         _ZN6thrust23THRUST_200600_302600_NS11hip_rocprim14__parallel_for6kernelILj256ENS1_20__uninitialized_fill7functorINS0_10device_ptrIiEEiEEmLj1EEEvT0_T1_SA_.kd
    .uniform_work_group_size: 1
    .uses_dynamic_stack: false
    .vgpr_count:     2
    .vgpr_spill_count: 0
    .wavefront_size: 32
  - .args:
      - .offset:         0
        .size:           48
        .value_kind:     by_value
      - .offset:         48
        .size:           4
        .value_kind:     hidden_block_count_x
      - .offset:         52
        .size:           4
        .value_kind:     hidden_block_count_y
      - .offset:         56
        .size:           4
        .value_kind:     hidden_block_count_z
      - .offset:         60
        .size:           2
        .value_kind:     hidden_group_size_x
      - .offset:         62
        .size:           2
        .value_kind:     hidden_group_size_y
      - .offset:         64
        .size:           2
        .value_kind:     hidden_group_size_z
      - .offset:         66
        .size:           2
        .value_kind:     hidden_remainder_x
      - .offset:         68
        .size:           2
        .value_kind:     hidden_remainder_y
      - .offset:         70
        .size:           2
        .value_kind:     hidden_remainder_z
      - .offset:         88
        .size:           8
        .value_kind:     hidden_global_offset_x
      - .offset:         96
        .size:           8
        .value_kind:     hidden_global_offset_y
      - .offset:         104
        .size:           8
        .value_kind:     hidden_global_offset_z
      - .offset:         112
        .size:           2
        .value_kind:     hidden_grid_dims
    .group_segment_fixed_size: 0
    .kernarg_segment_align: 8
    .kernarg_segment_size: 304
    .language:       OpenCL C
    .language_version:
      - 2
      - 0
    .max_flat_workgroup_size: 256
    .name:           _ZN7rocprim17ROCPRIM_400000_NS6detail17trampoline_kernelINS0_14default_configENS1_21merge_config_selectorIiNS0_10empty_typeEEEZNS1_10merge_implIS3_N6thrust23THRUST_200600_302600_NS6detail15normal_iteratorINS9_10device_ptrIKiEEEESF_NSB_INSC_IiEEEEPS5_SI_SI_NS9_4lessIiEEEE10hipError_tPvRmT0_T1_T2_T3_T4_T5_mmT6_P12ihipStream_tbEUlT_E_NS1_11comp_targetILNS1_3genE0ELNS1_11target_archE4294967295ELNS1_3gpuE0ELNS1_3repE0EEENS1_30default_config_static_selectorELNS0_4arch9wavefront6targetE0EEEvSP_
    .private_segment_fixed_size: 0
    .sgpr_count:     20
    .sgpr_spill_count: 0
    .symbol:         _ZN7rocprim17ROCPRIM_400000_NS6detail17trampoline_kernelINS0_14default_configENS1_21merge_config_selectorIiNS0_10empty_typeEEEZNS1_10merge_implIS3_N6thrust23THRUST_200600_302600_NS6detail15normal_iteratorINS9_10device_ptrIKiEEEESF_NSB_INSC_IiEEEEPS5_SI_SI_NS9_4lessIiEEEE10hipError_tPvRmT0_T1_T2_T3_T4_T5_mmT6_P12ihipStream_tbEUlT_E_NS1_11comp_targetILNS1_3genE0ELNS1_11target_archE4294967295ELNS1_3gpuE0ELNS1_3repE0EEENS1_30default_config_static_selectorELNS0_4arch9wavefront6targetE0EEEvSP_.kd
    .uniform_work_group_size: 1
    .uses_dynamic_stack: false
    .vgpr_count:     15
    .vgpr_spill_count: 0
    .wavefront_size: 32
  - .args:
      - .offset:         0
        .size:           48
        .value_kind:     by_value
    .group_segment_fixed_size: 0
    .kernarg_segment_align: 8
    .kernarg_segment_size: 48
    .language:       OpenCL C
    .language_version:
      - 2
      - 0
    .max_flat_workgroup_size: 256
    .name:           _ZN7rocprim17ROCPRIM_400000_NS6detail17trampoline_kernelINS0_14default_configENS1_21merge_config_selectorIiNS0_10empty_typeEEEZNS1_10merge_implIS3_N6thrust23THRUST_200600_302600_NS6detail15normal_iteratorINS9_10device_ptrIKiEEEESF_NSB_INSC_IiEEEEPS5_SI_SI_NS9_4lessIiEEEE10hipError_tPvRmT0_T1_T2_T3_T4_T5_mmT6_P12ihipStream_tbEUlT_E_NS1_11comp_targetILNS1_3genE5ELNS1_11target_archE942ELNS1_3gpuE9ELNS1_3repE0EEENS1_30default_config_static_selectorELNS0_4arch9wavefront6targetE0EEEvSP_
    .private_segment_fixed_size: 0
    .sgpr_count:     0
    .sgpr_spill_count: 0
    .symbol:         _ZN7rocprim17ROCPRIM_400000_NS6detail17trampoline_kernelINS0_14default_configENS1_21merge_config_selectorIiNS0_10empty_typeEEEZNS1_10merge_implIS3_N6thrust23THRUST_200600_302600_NS6detail15normal_iteratorINS9_10device_ptrIKiEEEESF_NSB_INSC_IiEEEEPS5_SI_SI_NS9_4lessIiEEEE10hipError_tPvRmT0_T1_T2_T3_T4_T5_mmT6_P12ihipStream_tbEUlT_E_NS1_11comp_targetILNS1_3genE5ELNS1_11target_archE942ELNS1_3gpuE9ELNS1_3repE0EEENS1_30default_config_static_selectorELNS0_4arch9wavefront6targetE0EEEvSP_.kd
    .uniform_work_group_size: 1
    .uses_dynamic_stack: false
    .vgpr_count:     0
    .vgpr_spill_count: 0
    .wavefront_size: 32
  - .args:
      - .offset:         0
        .size:           48
        .value_kind:     by_value
    .group_segment_fixed_size: 0
    .kernarg_segment_align: 8
    .kernarg_segment_size: 48
    .language:       OpenCL C
    .language_version:
      - 2
      - 0
    .max_flat_workgroup_size: 256
    .name:           _ZN7rocprim17ROCPRIM_400000_NS6detail17trampoline_kernelINS0_14default_configENS1_21merge_config_selectorIiNS0_10empty_typeEEEZNS1_10merge_implIS3_N6thrust23THRUST_200600_302600_NS6detail15normal_iteratorINS9_10device_ptrIKiEEEESF_NSB_INSC_IiEEEEPS5_SI_SI_NS9_4lessIiEEEE10hipError_tPvRmT0_T1_T2_T3_T4_T5_mmT6_P12ihipStream_tbEUlT_E_NS1_11comp_targetILNS1_3genE4ELNS1_11target_archE910ELNS1_3gpuE8ELNS1_3repE0EEENS1_30default_config_static_selectorELNS0_4arch9wavefront6targetE0EEEvSP_
    .private_segment_fixed_size: 0
    .sgpr_count:     0
    .sgpr_spill_count: 0
    .symbol:         _ZN7rocprim17ROCPRIM_400000_NS6detail17trampoline_kernelINS0_14default_configENS1_21merge_config_selectorIiNS0_10empty_typeEEEZNS1_10merge_implIS3_N6thrust23THRUST_200600_302600_NS6detail15normal_iteratorINS9_10device_ptrIKiEEEESF_NSB_INSC_IiEEEEPS5_SI_SI_NS9_4lessIiEEEE10hipError_tPvRmT0_T1_T2_T3_T4_T5_mmT6_P12ihipStream_tbEUlT_E_NS1_11comp_targetILNS1_3genE4ELNS1_11target_archE910ELNS1_3gpuE8ELNS1_3repE0EEENS1_30default_config_static_selectorELNS0_4arch9wavefront6targetE0EEEvSP_.kd
    .uniform_work_group_size: 1
    .uses_dynamic_stack: false
    .vgpr_count:     0
    .vgpr_spill_count: 0
    .wavefront_size: 32
  - .args:
      - .offset:         0
        .size:           48
        .value_kind:     by_value
    .group_segment_fixed_size: 0
    .kernarg_segment_align: 8
    .kernarg_segment_size: 48
    .language:       OpenCL C
    .language_version:
      - 2
      - 0
    .max_flat_workgroup_size: 256
    .name:           _ZN7rocprim17ROCPRIM_400000_NS6detail17trampoline_kernelINS0_14default_configENS1_21merge_config_selectorIiNS0_10empty_typeEEEZNS1_10merge_implIS3_N6thrust23THRUST_200600_302600_NS6detail15normal_iteratorINS9_10device_ptrIKiEEEESF_NSB_INSC_IiEEEEPS5_SI_SI_NS9_4lessIiEEEE10hipError_tPvRmT0_T1_T2_T3_T4_T5_mmT6_P12ihipStream_tbEUlT_E_NS1_11comp_targetILNS1_3genE3ELNS1_11target_archE908ELNS1_3gpuE7ELNS1_3repE0EEENS1_30default_config_static_selectorELNS0_4arch9wavefront6targetE0EEEvSP_
    .private_segment_fixed_size: 0
    .sgpr_count:     0
    .sgpr_spill_count: 0
    .symbol:         _ZN7rocprim17ROCPRIM_400000_NS6detail17trampoline_kernelINS0_14default_configENS1_21merge_config_selectorIiNS0_10empty_typeEEEZNS1_10merge_implIS3_N6thrust23THRUST_200600_302600_NS6detail15normal_iteratorINS9_10device_ptrIKiEEEESF_NSB_INSC_IiEEEEPS5_SI_SI_NS9_4lessIiEEEE10hipError_tPvRmT0_T1_T2_T3_T4_T5_mmT6_P12ihipStream_tbEUlT_E_NS1_11comp_targetILNS1_3genE3ELNS1_11target_archE908ELNS1_3gpuE7ELNS1_3repE0EEENS1_30default_config_static_selectorELNS0_4arch9wavefront6targetE0EEEvSP_.kd
    .uniform_work_group_size: 1
    .uses_dynamic_stack: false
    .vgpr_count:     0
    .vgpr_spill_count: 0
    .wavefront_size: 32
  - .args:
      - .offset:         0
        .size:           48
        .value_kind:     by_value
    .group_segment_fixed_size: 0
    .kernarg_segment_align: 8
    .kernarg_segment_size: 48
    .language:       OpenCL C
    .language_version:
      - 2
      - 0
    .max_flat_workgroup_size: 256
    .name:           _ZN7rocprim17ROCPRIM_400000_NS6detail17trampoline_kernelINS0_14default_configENS1_21merge_config_selectorIiNS0_10empty_typeEEEZNS1_10merge_implIS3_N6thrust23THRUST_200600_302600_NS6detail15normal_iteratorINS9_10device_ptrIKiEEEESF_NSB_INSC_IiEEEEPS5_SI_SI_NS9_4lessIiEEEE10hipError_tPvRmT0_T1_T2_T3_T4_T5_mmT6_P12ihipStream_tbEUlT_E_NS1_11comp_targetILNS1_3genE2ELNS1_11target_archE906ELNS1_3gpuE6ELNS1_3repE0EEENS1_30default_config_static_selectorELNS0_4arch9wavefront6targetE0EEEvSP_
    .private_segment_fixed_size: 0
    .sgpr_count:     0
    .sgpr_spill_count: 0
    .symbol:         _ZN7rocprim17ROCPRIM_400000_NS6detail17trampoline_kernelINS0_14default_configENS1_21merge_config_selectorIiNS0_10empty_typeEEEZNS1_10merge_implIS3_N6thrust23THRUST_200600_302600_NS6detail15normal_iteratorINS9_10device_ptrIKiEEEESF_NSB_INSC_IiEEEEPS5_SI_SI_NS9_4lessIiEEEE10hipError_tPvRmT0_T1_T2_T3_T4_T5_mmT6_P12ihipStream_tbEUlT_E_NS1_11comp_targetILNS1_3genE2ELNS1_11target_archE906ELNS1_3gpuE6ELNS1_3repE0EEENS1_30default_config_static_selectorELNS0_4arch9wavefront6targetE0EEEvSP_.kd
    .uniform_work_group_size: 1
    .uses_dynamic_stack: false
    .vgpr_count:     0
    .vgpr_spill_count: 0
    .wavefront_size: 32
  - .args:
      - .offset:         0
        .size:           48
        .value_kind:     by_value
    .group_segment_fixed_size: 0
    .kernarg_segment_align: 8
    .kernarg_segment_size: 48
    .language:       OpenCL C
    .language_version:
      - 2
      - 0
    .max_flat_workgroup_size: 1024
    .name:           _ZN7rocprim17ROCPRIM_400000_NS6detail17trampoline_kernelINS0_14default_configENS1_21merge_config_selectorIiNS0_10empty_typeEEEZNS1_10merge_implIS3_N6thrust23THRUST_200600_302600_NS6detail15normal_iteratorINS9_10device_ptrIKiEEEESF_NSB_INSC_IiEEEEPS5_SI_SI_NS9_4lessIiEEEE10hipError_tPvRmT0_T1_T2_T3_T4_T5_mmT6_P12ihipStream_tbEUlT_E_NS1_11comp_targetILNS1_3genE10ELNS1_11target_archE1201ELNS1_3gpuE5ELNS1_3repE0EEENS1_30default_config_static_selectorELNS0_4arch9wavefront6targetE0EEEvSP_
    .private_segment_fixed_size: 0
    .sgpr_count:     0
    .sgpr_spill_count: 0
    .symbol:         _ZN7rocprim17ROCPRIM_400000_NS6detail17trampoline_kernelINS0_14default_configENS1_21merge_config_selectorIiNS0_10empty_typeEEEZNS1_10merge_implIS3_N6thrust23THRUST_200600_302600_NS6detail15normal_iteratorINS9_10device_ptrIKiEEEESF_NSB_INSC_IiEEEEPS5_SI_SI_NS9_4lessIiEEEE10hipError_tPvRmT0_T1_T2_T3_T4_T5_mmT6_P12ihipStream_tbEUlT_E_NS1_11comp_targetILNS1_3genE10ELNS1_11target_archE1201ELNS1_3gpuE5ELNS1_3repE0EEENS1_30default_config_static_selectorELNS0_4arch9wavefront6targetE0EEEvSP_.kd
    .uniform_work_group_size: 1
    .uses_dynamic_stack: false
    .vgpr_count:     0
    .vgpr_spill_count: 0
    .wavefront_size: 32
  - .args:
      - .offset:         0
        .size:           48
        .value_kind:     by_value
    .group_segment_fixed_size: 0
    .kernarg_segment_align: 8
    .kernarg_segment_size: 48
    .language:       OpenCL C
    .language_version:
      - 2
      - 0
    .max_flat_workgroup_size: 1024
    .name:           _ZN7rocprim17ROCPRIM_400000_NS6detail17trampoline_kernelINS0_14default_configENS1_21merge_config_selectorIiNS0_10empty_typeEEEZNS1_10merge_implIS3_N6thrust23THRUST_200600_302600_NS6detail15normal_iteratorINS9_10device_ptrIKiEEEESF_NSB_INSC_IiEEEEPS5_SI_SI_NS9_4lessIiEEEE10hipError_tPvRmT0_T1_T2_T3_T4_T5_mmT6_P12ihipStream_tbEUlT_E_NS1_11comp_targetILNS1_3genE10ELNS1_11target_archE1200ELNS1_3gpuE4ELNS1_3repE0EEENS1_30default_config_static_selectorELNS0_4arch9wavefront6targetE0EEEvSP_
    .private_segment_fixed_size: 0
    .sgpr_count:     0
    .sgpr_spill_count: 0
    .symbol:         _ZN7rocprim17ROCPRIM_400000_NS6detail17trampoline_kernelINS0_14default_configENS1_21merge_config_selectorIiNS0_10empty_typeEEEZNS1_10merge_implIS3_N6thrust23THRUST_200600_302600_NS6detail15normal_iteratorINS9_10device_ptrIKiEEEESF_NSB_INSC_IiEEEEPS5_SI_SI_NS9_4lessIiEEEE10hipError_tPvRmT0_T1_T2_T3_T4_T5_mmT6_P12ihipStream_tbEUlT_E_NS1_11comp_targetILNS1_3genE10ELNS1_11target_archE1200ELNS1_3gpuE4ELNS1_3repE0EEENS1_30default_config_static_selectorELNS0_4arch9wavefront6targetE0EEEvSP_.kd
    .uniform_work_group_size: 1
    .uses_dynamic_stack: false
    .vgpr_count:     0
    .vgpr_spill_count: 0
    .wavefront_size: 32
  - .args:
      - .offset:         0
        .size:           48
        .value_kind:     by_value
    .group_segment_fixed_size: 0
    .kernarg_segment_align: 8
    .kernarg_segment_size: 48
    .language:       OpenCL C
    .language_version:
      - 2
      - 0
    .max_flat_workgroup_size: 1024
    .name:           _ZN7rocprim17ROCPRIM_400000_NS6detail17trampoline_kernelINS0_14default_configENS1_21merge_config_selectorIiNS0_10empty_typeEEEZNS1_10merge_implIS3_N6thrust23THRUST_200600_302600_NS6detail15normal_iteratorINS9_10device_ptrIKiEEEESF_NSB_INSC_IiEEEEPS5_SI_SI_NS9_4lessIiEEEE10hipError_tPvRmT0_T1_T2_T3_T4_T5_mmT6_P12ihipStream_tbEUlT_E_NS1_11comp_targetILNS1_3genE9ELNS1_11target_archE1100ELNS1_3gpuE3ELNS1_3repE0EEENS1_30default_config_static_selectorELNS0_4arch9wavefront6targetE0EEEvSP_
    .private_segment_fixed_size: 0
    .sgpr_count:     0
    .sgpr_spill_count: 0
    .symbol:         _ZN7rocprim17ROCPRIM_400000_NS6detail17trampoline_kernelINS0_14default_configENS1_21merge_config_selectorIiNS0_10empty_typeEEEZNS1_10merge_implIS3_N6thrust23THRUST_200600_302600_NS6detail15normal_iteratorINS9_10device_ptrIKiEEEESF_NSB_INSC_IiEEEEPS5_SI_SI_NS9_4lessIiEEEE10hipError_tPvRmT0_T1_T2_T3_T4_T5_mmT6_P12ihipStream_tbEUlT_E_NS1_11comp_targetILNS1_3genE9ELNS1_11target_archE1100ELNS1_3gpuE3ELNS1_3repE0EEENS1_30default_config_static_selectorELNS0_4arch9wavefront6targetE0EEEvSP_.kd
    .uniform_work_group_size: 1
    .uses_dynamic_stack: false
    .vgpr_count:     0
    .vgpr_spill_count: 0
    .wavefront_size: 32
  - .args:
      - .offset:         0
        .size:           48
        .value_kind:     by_value
    .group_segment_fixed_size: 0
    .kernarg_segment_align: 8
    .kernarg_segment_size: 48
    .language:       OpenCL C
    .language_version:
      - 2
      - 0
    .max_flat_workgroup_size: 1024
    .name:           _ZN7rocprim17ROCPRIM_400000_NS6detail17trampoline_kernelINS0_14default_configENS1_21merge_config_selectorIiNS0_10empty_typeEEEZNS1_10merge_implIS3_N6thrust23THRUST_200600_302600_NS6detail15normal_iteratorINS9_10device_ptrIKiEEEESF_NSB_INSC_IiEEEEPS5_SI_SI_NS9_4lessIiEEEE10hipError_tPvRmT0_T1_T2_T3_T4_T5_mmT6_P12ihipStream_tbEUlT_E_NS1_11comp_targetILNS1_3genE8ELNS1_11target_archE1030ELNS1_3gpuE2ELNS1_3repE0EEENS1_30default_config_static_selectorELNS0_4arch9wavefront6targetE0EEEvSP_
    .private_segment_fixed_size: 0
    .sgpr_count:     0
    .sgpr_spill_count: 0
    .symbol:         _ZN7rocprim17ROCPRIM_400000_NS6detail17trampoline_kernelINS0_14default_configENS1_21merge_config_selectorIiNS0_10empty_typeEEEZNS1_10merge_implIS3_N6thrust23THRUST_200600_302600_NS6detail15normal_iteratorINS9_10device_ptrIKiEEEESF_NSB_INSC_IiEEEEPS5_SI_SI_NS9_4lessIiEEEE10hipError_tPvRmT0_T1_T2_T3_T4_T5_mmT6_P12ihipStream_tbEUlT_E_NS1_11comp_targetILNS1_3genE8ELNS1_11target_archE1030ELNS1_3gpuE2ELNS1_3repE0EEENS1_30default_config_static_selectorELNS0_4arch9wavefront6targetE0EEEvSP_.kd
    .uniform_work_group_size: 1
    .uses_dynamic_stack: false
    .vgpr_count:     0
    .vgpr_spill_count: 0
    .wavefront_size: 32
  - .args:
      - .offset:         0
        .size:           88
        .value_kind:     by_value
    .group_segment_fixed_size: 10256
    .kernarg_segment_align: 8
    .kernarg_segment_size: 88
    .language:       OpenCL C
    .language_version:
      - 2
      - 0
    .max_flat_workgroup_size: 256
    .name:           _ZN7rocprim17ROCPRIM_400000_NS6detail17trampoline_kernelINS0_14default_configENS1_21merge_config_selectorIiNS0_10empty_typeEEEZNS1_10merge_implIS3_N6thrust23THRUST_200600_302600_NS6detail15normal_iteratorINS9_10device_ptrIKiEEEESF_NSB_INSC_IiEEEEPS5_SI_SI_NS9_4lessIiEEEE10hipError_tPvRmT0_T1_T2_T3_T4_T5_mmT6_P12ihipStream_tbEUlT_E0_NS1_11comp_targetILNS1_3genE0ELNS1_11target_archE4294967295ELNS1_3gpuE0ELNS1_3repE0EEENS1_30default_config_static_selectorELNS0_4arch9wavefront6targetE0EEEvSP_
    .private_segment_fixed_size: 0
    .sgpr_count:     21
    .sgpr_spill_count: 0
    .symbol:         _ZN7rocprim17ROCPRIM_400000_NS6detail17trampoline_kernelINS0_14default_configENS1_21merge_config_selectorIiNS0_10empty_typeEEEZNS1_10merge_implIS3_N6thrust23THRUST_200600_302600_NS6detail15normal_iteratorINS9_10device_ptrIKiEEEESF_NSB_INSC_IiEEEEPS5_SI_SI_NS9_4lessIiEEEE10hipError_tPvRmT0_T1_T2_T3_T4_T5_mmT6_P12ihipStream_tbEUlT_E0_NS1_11comp_targetILNS1_3genE0ELNS1_11target_archE4294967295ELNS1_3gpuE0ELNS1_3repE0EEENS1_30default_config_static_selectorELNS0_4arch9wavefront6targetE0EEEvSP_.kd
    .uniform_work_group_size: 1
    .uses_dynamic_stack: false
    .vgpr_count:     36
    .vgpr_spill_count: 0
    .wavefront_size: 32
  - .args:
      - .offset:         0
        .size:           88
        .value_kind:     by_value
    .group_segment_fixed_size: 0
    .kernarg_segment_align: 8
    .kernarg_segment_size: 88
    .language:       OpenCL C
    .language_version:
      - 2
      - 0
    .max_flat_workgroup_size: 256
    .name:           _ZN7rocprim17ROCPRIM_400000_NS6detail17trampoline_kernelINS0_14default_configENS1_21merge_config_selectorIiNS0_10empty_typeEEEZNS1_10merge_implIS3_N6thrust23THRUST_200600_302600_NS6detail15normal_iteratorINS9_10device_ptrIKiEEEESF_NSB_INSC_IiEEEEPS5_SI_SI_NS9_4lessIiEEEE10hipError_tPvRmT0_T1_T2_T3_T4_T5_mmT6_P12ihipStream_tbEUlT_E0_NS1_11comp_targetILNS1_3genE5ELNS1_11target_archE942ELNS1_3gpuE9ELNS1_3repE0EEENS1_30default_config_static_selectorELNS0_4arch9wavefront6targetE0EEEvSP_
    .private_segment_fixed_size: 0
    .sgpr_count:     0
    .sgpr_spill_count: 0
    .symbol:         _ZN7rocprim17ROCPRIM_400000_NS6detail17trampoline_kernelINS0_14default_configENS1_21merge_config_selectorIiNS0_10empty_typeEEEZNS1_10merge_implIS3_N6thrust23THRUST_200600_302600_NS6detail15normal_iteratorINS9_10device_ptrIKiEEEESF_NSB_INSC_IiEEEEPS5_SI_SI_NS9_4lessIiEEEE10hipError_tPvRmT0_T1_T2_T3_T4_T5_mmT6_P12ihipStream_tbEUlT_E0_NS1_11comp_targetILNS1_3genE5ELNS1_11target_archE942ELNS1_3gpuE9ELNS1_3repE0EEENS1_30default_config_static_selectorELNS0_4arch9wavefront6targetE0EEEvSP_.kd
    .uniform_work_group_size: 1
    .uses_dynamic_stack: false
    .vgpr_count:     0
    .vgpr_spill_count: 0
    .wavefront_size: 32
  - .args:
      - .offset:         0
        .size:           88
        .value_kind:     by_value
    .group_segment_fixed_size: 0
    .kernarg_segment_align: 8
    .kernarg_segment_size: 88
    .language:       OpenCL C
    .language_version:
      - 2
      - 0
    .max_flat_workgroup_size: 256
    .name:           _ZN7rocprim17ROCPRIM_400000_NS6detail17trampoline_kernelINS0_14default_configENS1_21merge_config_selectorIiNS0_10empty_typeEEEZNS1_10merge_implIS3_N6thrust23THRUST_200600_302600_NS6detail15normal_iteratorINS9_10device_ptrIKiEEEESF_NSB_INSC_IiEEEEPS5_SI_SI_NS9_4lessIiEEEE10hipError_tPvRmT0_T1_T2_T3_T4_T5_mmT6_P12ihipStream_tbEUlT_E0_NS1_11comp_targetILNS1_3genE4ELNS1_11target_archE910ELNS1_3gpuE8ELNS1_3repE0EEENS1_30default_config_static_selectorELNS0_4arch9wavefront6targetE0EEEvSP_
    .private_segment_fixed_size: 0
    .sgpr_count:     0
    .sgpr_spill_count: 0
    .symbol:         _ZN7rocprim17ROCPRIM_400000_NS6detail17trampoline_kernelINS0_14default_configENS1_21merge_config_selectorIiNS0_10empty_typeEEEZNS1_10merge_implIS3_N6thrust23THRUST_200600_302600_NS6detail15normal_iteratorINS9_10device_ptrIKiEEEESF_NSB_INSC_IiEEEEPS5_SI_SI_NS9_4lessIiEEEE10hipError_tPvRmT0_T1_T2_T3_T4_T5_mmT6_P12ihipStream_tbEUlT_E0_NS1_11comp_targetILNS1_3genE4ELNS1_11target_archE910ELNS1_3gpuE8ELNS1_3repE0EEENS1_30default_config_static_selectorELNS0_4arch9wavefront6targetE0EEEvSP_.kd
    .uniform_work_group_size: 1
    .uses_dynamic_stack: false
    .vgpr_count:     0
    .vgpr_spill_count: 0
    .wavefront_size: 32
  - .args:
      - .offset:         0
        .size:           88
        .value_kind:     by_value
    .group_segment_fixed_size: 0
    .kernarg_segment_align: 8
    .kernarg_segment_size: 88
    .language:       OpenCL C
    .language_version:
      - 2
      - 0
    .max_flat_workgroup_size: 256
    .name:           _ZN7rocprim17ROCPRIM_400000_NS6detail17trampoline_kernelINS0_14default_configENS1_21merge_config_selectorIiNS0_10empty_typeEEEZNS1_10merge_implIS3_N6thrust23THRUST_200600_302600_NS6detail15normal_iteratorINS9_10device_ptrIKiEEEESF_NSB_INSC_IiEEEEPS5_SI_SI_NS9_4lessIiEEEE10hipError_tPvRmT0_T1_T2_T3_T4_T5_mmT6_P12ihipStream_tbEUlT_E0_NS1_11comp_targetILNS1_3genE3ELNS1_11target_archE908ELNS1_3gpuE7ELNS1_3repE0EEENS1_30default_config_static_selectorELNS0_4arch9wavefront6targetE0EEEvSP_
    .private_segment_fixed_size: 0
    .sgpr_count:     0
    .sgpr_spill_count: 0
    .symbol:         _ZN7rocprim17ROCPRIM_400000_NS6detail17trampoline_kernelINS0_14default_configENS1_21merge_config_selectorIiNS0_10empty_typeEEEZNS1_10merge_implIS3_N6thrust23THRUST_200600_302600_NS6detail15normal_iteratorINS9_10device_ptrIKiEEEESF_NSB_INSC_IiEEEEPS5_SI_SI_NS9_4lessIiEEEE10hipError_tPvRmT0_T1_T2_T3_T4_T5_mmT6_P12ihipStream_tbEUlT_E0_NS1_11comp_targetILNS1_3genE3ELNS1_11target_archE908ELNS1_3gpuE7ELNS1_3repE0EEENS1_30default_config_static_selectorELNS0_4arch9wavefront6targetE0EEEvSP_.kd
    .uniform_work_group_size: 1
    .uses_dynamic_stack: false
    .vgpr_count:     0
    .vgpr_spill_count: 0
    .wavefront_size: 32
  - .args:
      - .offset:         0
        .size:           88
        .value_kind:     by_value
    .group_segment_fixed_size: 0
    .kernarg_segment_align: 8
    .kernarg_segment_size: 88
    .language:       OpenCL C
    .language_version:
      - 2
      - 0
    .max_flat_workgroup_size: 256
    .name:           _ZN7rocprim17ROCPRIM_400000_NS6detail17trampoline_kernelINS0_14default_configENS1_21merge_config_selectorIiNS0_10empty_typeEEEZNS1_10merge_implIS3_N6thrust23THRUST_200600_302600_NS6detail15normal_iteratorINS9_10device_ptrIKiEEEESF_NSB_INSC_IiEEEEPS5_SI_SI_NS9_4lessIiEEEE10hipError_tPvRmT0_T1_T2_T3_T4_T5_mmT6_P12ihipStream_tbEUlT_E0_NS1_11comp_targetILNS1_3genE2ELNS1_11target_archE906ELNS1_3gpuE6ELNS1_3repE0EEENS1_30default_config_static_selectorELNS0_4arch9wavefront6targetE0EEEvSP_
    .private_segment_fixed_size: 0
    .sgpr_count:     0
    .sgpr_spill_count: 0
    .symbol:         _ZN7rocprim17ROCPRIM_400000_NS6detail17trampoline_kernelINS0_14default_configENS1_21merge_config_selectorIiNS0_10empty_typeEEEZNS1_10merge_implIS3_N6thrust23THRUST_200600_302600_NS6detail15normal_iteratorINS9_10device_ptrIKiEEEESF_NSB_INSC_IiEEEEPS5_SI_SI_NS9_4lessIiEEEE10hipError_tPvRmT0_T1_T2_T3_T4_T5_mmT6_P12ihipStream_tbEUlT_E0_NS1_11comp_targetILNS1_3genE2ELNS1_11target_archE906ELNS1_3gpuE6ELNS1_3repE0EEENS1_30default_config_static_selectorELNS0_4arch9wavefront6targetE0EEEvSP_.kd
    .uniform_work_group_size: 1
    .uses_dynamic_stack: false
    .vgpr_count:     0
    .vgpr_spill_count: 0
    .wavefront_size: 32
  - .args:
      - .offset:         0
        .size:           88
        .value_kind:     by_value
    .group_segment_fixed_size: 0
    .kernarg_segment_align: 8
    .kernarg_segment_size: 88
    .language:       OpenCL C
    .language_version:
      - 2
      - 0
    .max_flat_workgroup_size: 1024
    .name:           _ZN7rocprim17ROCPRIM_400000_NS6detail17trampoline_kernelINS0_14default_configENS1_21merge_config_selectorIiNS0_10empty_typeEEEZNS1_10merge_implIS3_N6thrust23THRUST_200600_302600_NS6detail15normal_iteratorINS9_10device_ptrIKiEEEESF_NSB_INSC_IiEEEEPS5_SI_SI_NS9_4lessIiEEEE10hipError_tPvRmT0_T1_T2_T3_T4_T5_mmT6_P12ihipStream_tbEUlT_E0_NS1_11comp_targetILNS1_3genE10ELNS1_11target_archE1201ELNS1_3gpuE5ELNS1_3repE0EEENS1_30default_config_static_selectorELNS0_4arch9wavefront6targetE0EEEvSP_
    .private_segment_fixed_size: 0
    .sgpr_count:     0
    .sgpr_spill_count: 0
    .symbol:         _ZN7rocprim17ROCPRIM_400000_NS6detail17trampoline_kernelINS0_14default_configENS1_21merge_config_selectorIiNS0_10empty_typeEEEZNS1_10merge_implIS3_N6thrust23THRUST_200600_302600_NS6detail15normal_iteratorINS9_10device_ptrIKiEEEESF_NSB_INSC_IiEEEEPS5_SI_SI_NS9_4lessIiEEEE10hipError_tPvRmT0_T1_T2_T3_T4_T5_mmT6_P12ihipStream_tbEUlT_E0_NS1_11comp_targetILNS1_3genE10ELNS1_11target_archE1201ELNS1_3gpuE5ELNS1_3repE0EEENS1_30default_config_static_selectorELNS0_4arch9wavefront6targetE0EEEvSP_.kd
    .uniform_work_group_size: 1
    .uses_dynamic_stack: false
    .vgpr_count:     0
    .vgpr_spill_count: 0
    .wavefront_size: 32
  - .args:
      - .offset:         0
        .size:           88
        .value_kind:     by_value
    .group_segment_fixed_size: 0
    .kernarg_segment_align: 8
    .kernarg_segment_size: 88
    .language:       OpenCL C
    .language_version:
      - 2
      - 0
    .max_flat_workgroup_size: 1024
    .name:           _ZN7rocprim17ROCPRIM_400000_NS6detail17trampoline_kernelINS0_14default_configENS1_21merge_config_selectorIiNS0_10empty_typeEEEZNS1_10merge_implIS3_N6thrust23THRUST_200600_302600_NS6detail15normal_iteratorINS9_10device_ptrIKiEEEESF_NSB_INSC_IiEEEEPS5_SI_SI_NS9_4lessIiEEEE10hipError_tPvRmT0_T1_T2_T3_T4_T5_mmT6_P12ihipStream_tbEUlT_E0_NS1_11comp_targetILNS1_3genE10ELNS1_11target_archE1200ELNS1_3gpuE4ELNS1_3repE0EEENS1_30default_config_static_selectorELNS0_4arch9wavefront6targetE0EEEvSP_
    .private_segment_fixed_size: 0
    .sgpr_count:     0
    .sgpr_spill_count: 0
    .symbol:         _ZN7rocprim17ROCPRIM_400000_NS6detail17trampoline_kernelINS0_14default_configENS1_21merge_config_selectorIiNS0_10empty_typeEEEZNS1_10merge_implIS3_N6thrust23THRUST_200600_302600_NS6detail15normal_iteratorINS9_10device_ptrIKiEEEESF_NSB_INSC_IiEEEEPS5_SI_SI_NS9_4lessIiEEEE10hipError_tPvRmT0_T1_T2_T3_T4_T5_mmT6_P12ihipStream_tbEUlT_E0_NS1_11comp_targetILNS1_3genE10ELNS1_11target_archE1200ELNS1_3gpuE4ELNS1_3repE0EEENS1_30default_config_static_selectorELNS0_4arch9wavefront6targetE0EEEvSP_.kd
    .uniform_work_group_size: 1
    .uses_dynamic_stack: false
    .vgpr_count:     0
    .vgpr_spill_count: 0
    .wavefront_size: 32
  - .args:
      - .offset:         0
        .size:           88
        .value_kind:     by_value
    .group_segment_fixed_size: 0
    .kernarg_segment_align: 8
    .kernarg_segment_size: 88
    .language:       OpenCL C
    .language_version:
      - 2
      - 0
    .max_flat_workgroup_size: 1024
    .name:           _ZN7rocprim17ROCPRIM_400000_NS6detail17trampoline_kernelINS0_14default_configENS1_21merge_config_selectorIiNS0_10empty_typeEEEZNS1_10merge_implIS3_N6thrust23THRUST_200600_302600_NS6detail15normal_iteratorINS9_10device_ptrIKiEEEESF_NSB_INSC_IiEEEEPS5_SI_SI_NS9_4lessIiEEEE10hipError_tPvRmT0_T1_T2_T3_T4_T5_mmT6_P12ihipStream_tbEUlT_E0_NS1_11comp_targetILNS1_3genE9ELNS1_11target_archE1100ELNS1_3gpuE3ELNS1_3repE0EEENS1_30default_config_static_selectorELNS0_4arch9wavefront6targetE0EEEvSP_
    .private_segment_fixed_size: 0
    .sgpr_count:     0
    .sgpr_spill_count: 0
    .symbol:         _ZN7rocprim17ROCPRIM_400000_NS6detail17trampoline_kernelINS0_14default_configENS1_21merge_config_selectorIiNS0_10empty_typeEEEZNS1_10merge_implIS3_N6thrust23THRUST_200600_302600_NS6detail15normal_iteratorINS9_10device_ptrIKiEEEESF_NSB_INSC_IiEEEEPS5_SI_SI_NS9_4lessIiEEEE10hipError_tPvRmT0_T1_T2_T3_T4_T5_mmT6_P12ihipStream_tbEUlT_E0_NS1_11comp_targetILNS1_3genE9ELNS1_11target_archE1100ELNS1_3gpuE3ELNS1_3repE0EEENS1_30default_config_static_selectorELNS0_4arch9wavefront6targetE0EEEvSP_.kd
    .uniform_work_group_size: 1
    .uses_dynamic_stack: false
    .vgpr_count:     0
    .vgpr_spill_count: 0
    .wavefront_size: 32
  - .args:
      - .offset:         0
        .size:           88
        .value_kind:     by_value
    .group_segment_fixed_size: 0
    .kernarg_segment_align: 8
    .kernarg_segment_size: 88
    .language:       OpenCL C
    .language_version:
      - 2
      - 0
    .max_flat_workgroup_size: 1024
    .name:           _ZN7rocprim17ROCPRIM_400000_NS6detail17trampoline_kernelINS0_14default_configENS1_21merge_config_selectorIiNS0_10empty_typeEEEZNS1_10merge_implIS3_N6thrust23THRUST_200600_302600_NS6detail15normal_iteratorINS9_10device_ptrIKiEEEESF_NSB_INSC_IiEEEEPS5_SI_SI_NS9_4lessIiEEEE10hipError_tPvRmT0_T1_T2_T3_T4_T5_mmT6_P12ihipStream_tbEUlT_E0_NS1_11comp_targetILNS1_3genE8ELNS1_11target_archE1030ELNS1_3gpuE2ELNS1_3repE0EEENS1_30default_config_static_selectorELNS0_4arch9wavefront6targetE0EEEvSP_
    .private_segment_fixed_size: 0
    .sgpr_count:     0
    .sgpr_spill_count: 0
    .symbol:         _ZN7rocprim17ROCPRIM_400000_NS6detail17trampoline_kernelINS0_14default_configENS1_21merge_config_selectorIiNS0_10empty_typeEEEZNS1_10merge_implIS3_N6thrust23THRUST_200600_302600_NS6detail15normal_iteratorINS9_10device_ptrIKiEEEESF_NSB_INSC_IiEEEEPS5_SI_SI_NS9_4lessIiEEEE10hipError_tPvRmT0_T1_T2_T3_T4_T5_mmT6_P12ihipStream_tbEUlT_E0_NS1_11comp_targetILNS1_3genE8ELNS1_11target_archE1030ELNS1_3gpuE2ELNS1_3repE0EEENS1_30default_config_static_selectorELNS0_4arch9wavefront6targetE0EEEvSP_.kd
    .uniform_work_group_size: 1
    .uses_dynamic_stack: false
    .vgpr_count:     0
    .vgpr_spill_count: 0
    .wavefront_size: 32
  - .args:
      - .address_space:  global
        .offset:         0
        .size:           8
        .value_kind:     global_buffer
      - .offset:         8
        .size:           4
        .value_kind:     by_value
      - .address_space:  global
        .offset:         16
        .size:           8
        .value_kind:     global_buffer
      - .offset:         24
        .size:           4
        .value_kind:     by_value
      - .address_space:  global
        .offset:         32
        .size:           8
        .value_kind:     global_buffer
      - .offset:         40
        .size:           4
        .value_kind:     hidden_block_count_x
      - .offset:         44
        .size:           4
        .value_kind:     hidden_block_count_y
      - .offset:         48
        .size:           4
        .value_kind:     hidden_block_count_z
      - .offset:         52
        .size:           2
        .value_kind:     hidden_group_size_x
      - .offset:         54
        .size:           2
        .value_kind:     hidden_group_size_y
      - .offset:         56
        .size:           2
        .value_kind:     hidden_group_size_z
      - .offset:         58
        .size:           2
        .value_kind:     hidden_remainder_x
      - .offset:         60
        .size:           2
        .value_kind:     hidden_remainder_y
      - .offset:         62
        .size:           2
        .value_kind:     hidden_remainder_z
      - .offset:         80
        .size:           8
        .value_kind:     hidden_global_offset_x
      - .offset:         88
        .size:           8
        .value_kind:     hidden_global_offset_y
      - .offset:         96
        .size:           8
        .value_kind:     hidden_global_offset_z
      - .offset:         104
        .size:           2
        .value_kind:     hidden_grid_dims
    .group_segment_fixed_size: 0
    .kernarg_segment_align: 8
    .kernarg_segment_size: 296
    .language:       OpenCL C
    .language_version:
      - 2
      - 0
    .max_flat_workgroup_size: 256
    .name:           _ZN7rocprim17ROCPRIM_400000_NS6detail31init_lookback_scan_state_kernelINS1_19lookback_scan_stateIlLb0ELb1EEENS1_16ordered_block_idIjEEEEvT_jT0_jPNS7_10value_typeE
    .private_segment_fixed_size: 0
    .sgpr_count:     14
    .sgpr_spill_count: 0
    .symbol:         _ZN7rocprim17ROCPRIM_400000_NS6detail31init_lookback_scan_state_kernelINS1_19lookback_scan_stateIlLb0ELb1EEENS1_16ordered_block_idIjEEEEvT_jT0_jPNS7_10value_typeE.kd
    .uniform_work_group_size: 1
    .uses_dynamic_stack: false
    .vgpr_count:     9
    .vgpr_spill_count: 0
    .wavefront_size: 32
  - .args:
      - .offset:         0
        .size:           48
        .value_kind:     by_value
      - .offset:         48
        .size:           4
        .value_kind:     by_value
      - .offset:         52
        .size:           4
        .value_kind:     by_value
    .group_segment_fixed_size: 0
    .kernarg_segment_align: 8
    .kernarg_segment_size: 56
    .language:       OpenCL C
    .language_version:
      - 2
      - 0
    .max_flat_workgroup_size: 256
    .name:           _ZN6thrust23THRUST_200600_302600_NS11hip_rocprim14__parallel_for6kernelILj256EZNS1_16__set_operations9doit_stepILb0ENS0_6detail15normal_iteratorINS0_10device_ptrIKiEEEESB_PiSC_lNS7_INS8_IiEEEESC_NS0_4lessIiEENS4_16serial_set_unionEEE10hipError_tPvRmT0_T1_T2_T3_T4_SP_T5_T6_PSP_T7_T8_P12ihipStream_tbEUllE_jLj1EEEvSL_SM_SM_
    .private_segment_fixed_size: 0
    .sgpr_count:     18
    .sgpr_spill_count: 0
    .symbol:         _ZN6thrust23THRUST_200600_302600_NS11hip_rocprim14__parallel_for6kernelILj256EZNS1_16__set_operations9doit_stepILb0ENS0_6detail15normal_iteratorINS0_10device_ptrIKiEEEESB_PiSC_lNS7_INS8_IiEEEESC_NS0_4lessIiEENS4_16serial_set_unionEEE10hipError_tPvRmT0_T1_T2_T3_T4_SP_T5_T6_PSP_T7_T8_P12ihipStream_tbEUllE_jLj1EEEvSL_SM_SM_.kd
    .uniform_work_group_size: 1
    .uses_dynamic_stack: false
    .vgpr_count:     25
    .vgpr_spill_count: 0
    .wavefront_size: 32
  - .args:
      - .address_space:  global
        .offset:         0
        .size:           8
        .value_kind:     global_buffer
      - .address_space:  global
        .offset:         8
        .size:           8
        .value_kind:     global_buffer
      - .address_space:  global
        .offset:         16
        .size:           8
        .value_kind:     global_buffer
      - .address_space:  global
        .offset:         24
        .size:           8
        .value_kind:     global_buffer
      - .address_space:  global
        .offset:         32
        .size:           8
        .value_kind:     global_buffer
      - .address_space:  global
        .offset:         40
        .size:           8
        .value_kind:     global_buffer
      - .offset:         48
        .size:           1
        .value_kind:     by_value
      - .offset:         49
        .size:           1
        .value_kind:     by_value
      - .address_space:  global
        .offset:         56
        .size:           8
        .value_kind:     global_buffer
      - .address_space:  global
        .offset:         64
        .size:           8
        .value_kind:     global_buffer
      - .address_space:  global
        .offset:         72
        .size:           8
        .value_kind:     global_buffer
      - .address_space:  global
        .offset:         80
        .size:           8
        .value_kind:     global_buffer
      - .offset:         88
        .size:           4
        .value_kind:     hidden_block_count_x
      - .offset:         92
        .size:           4
        .value_kind:     hidden_block_count_y
      - .offset:         96
        .size:           4
        .value_kind:     hidden_block_count_z
      - .offset:         100
        .size:           2
        .value_kind:     hidden_group_size_x
      - .offset:         102
        .size:           2
        .value_kind:     hidden_group_size_y
      - .offset:         104
        .size:           2
        .value_kind:     hidden_group_size_z
      - .offset:         106
        .size:           2
        .value_kind:     hidden_remainder_x
      - .offset:         108
        .size:           2
        .value_kind:     hidden_remainder_y
      - .offset:         110
        .size:           2
        .value_kind:     hidden_remainder_z
      - .offset:         128
        .size:           8
        .value_kind:     hidden_global_offset_x
      - .offset:         136
        .size:           8
        .value_kind:     hidden_global_offset_y
      - .offset:         144
        .size:           8
        .value_kind:     hidden_global_offset_z
      - .offset:         152
        .size:           2
        .value_kind:     hidden_grid_dims
    .group_segment_fixed_size: 36868
    .kernarg_segment_align: 8
    .kernarg_segment_size: 344
    .language:       OpenCL C
    .language_version:
      - 2
      - 0
    .max_flat_workgroup_size: 256
    .name:           _ZN6thrust23THRUST_200600_302600_NS11hip_rocprim16__set_operations22lookback_set_op_kernelIN7rocprim17ROCPRIM_400000_NS13kernel_configILj256ELj16ELj4294967295EEELb0ENS0_6detail15normal_iteratorINS0_10device_ptrIKiEEEESD_PiSE_lNS9_INSA_IiEEEESE_NS0_4lessIiEENS2_16serial_set_unionENS5_6detail19lookback_scan_stateIlLb0ELb1EEEEEvT1_T2_T3_T4_T6_T7_T8_T9_PNS0_4pairIT5_SW_EEPSW_T10_NSK_16ordered_block_idIjEE
    .private_segment_fixed_size: 0
    .sgpr_count:     38
    .sgpr_spill_count: 0
    .symbol:         _ZN6thrust23THRUST_200600_302600_NS11hip_rocprim16__set_operations22lookback_set_op_kernelIN7rocprim17ROCPRIM_400000_NS13kernel_configILj256ELj16ELj4294967295EEELb0ENS0_6detail15normal_iteratorINS0_10device_ptrIKiEEEESD_PiSE_lNS9_INSA_IiEEEESE_NS0_4lessIiEENS2_16serial_set_unionENS5_6detail19lookback_scan_stateIlLb0ELb1EEEEEvT1_T2_T3_T4_T6_T7_T8_T9_PNS0_4pairIT5_SW_EEPSW_T10_NSK_16ordered_block_idIjEE.kd
    .uniform_work_group_size: 1
    .uses_dynamic_stack: false
    .vgpr_count:     81
    .vgpr_spill_count: 0
    .wavefront_size: 32
  - .args:
      - .offset:         0
        .size:           48
        .value_kind:     by_value
      - .offset:         48
        .size:           4
        .value_kind:     by_value
      - .offset:         52
        .size:           4
        .value_kind:     by_value
    .group_segment_fixed_size: 0
    .kernarg_segment_align: 8
    .kernarg_segment_size: 56
    .language:       OpenCL C
    .language_version:
      - 2
      - 0
    .max_flat_workgroup_size: 256
    .name:           _ZN6thrust23THRUST_200600_302600_NS11hip_rocprim14__parallel_for6kernelILj256EZNS1_16__set_operations9doit_stepILb0ENS0_6detail15normal_iteratorINS0_10device_ptrIKiEEEESB_PiSC_lNS7_INS8_IiEEEESC_NS0_4lessIiEENS4_23serial_set_intersectionEEE10hipError_tPvRmT0_T1_T2_T3_T4_SP_T5_T6_PSP_T7_T8_P12ihipStream_tbEUllE_jLj1EEEvSL_SM_SM_
    .private_segment_fixed_size: 0
    .sgpr_count:     18
    .sgpr_spill_count: 0
    .symbol:         _ZN6thrust23THRUST_200600_302600_NS11hip_rocprim14__parallel_for6kernelILj256EZNS1_16__set_operations9doit_stepILb0ENS0_6detail15normal_iteratorINS0_10device_ptrIKiEEEESB_PiSC_lNS7_INS8_IiEEEESC_NS0_4lessIiEENS4_23serial_set_intersectionEEE10hipError_tPvRmT0_T1_T2_T3_T4_SP_T5_T6_PSP_T7_T8_P12ihipStream_tbEUllE_jLj1EEEvSL_SM_SM_.kd
    .uniform_work_group_size: 1
    .uses_dynamic_stack: false
    .vgpr_count:     25
    .vgpr_spill_count: 0
    .wavefront_size: 32
  - .args:
      - .address_space:  global
        .offset:         0
        .size:           8
        .value_kind:     global_buffer
      - .address_space:  global
        .offset:         8
        .size:           8
        .value_kind:     global_buffer
      - .address_space:  global
        .offset:         16
        .size:           8
        .value_kind:     global_buffer
      - .address_space:  global
        .offset:         24
        .size:           8
        .value_kind:     global_buffer
      - .address_space:  global
        .offset:         32
        .size:           8
        .value_kind:     global_buffer
      - .address_space:  global
        .offset:         40
        .size:           8
        .value_kind:     global_buffer
      - .offset:         48
        .size:           1
        .value_kind:     by_value
      - .offset:         49
        .size:           1
        .value_kind:     by_value
      - .address_space:  global
        .offset:         56
        .size:           8
        .value_kind:     global_buffer
      - .address_space:  global
        .offset:         64
        .size:           8
        .value_kind:     global_buffer
      - .address_space:  global
        .offset:         72
        .size:           8
        .value_kind:     global_buffer
      - .address_space:  global
        .offset:         80
        .size:           8
        .value_kind:     global_buffer
      - .offset:         88
        .size:           4
        .value_kind:     hidden_block_count_x
      - .offset:         92
        .size:           4
        .value_kind:     hidden_block_count_y
      - .offset:         96
        .size:           4
        .value_kind:     hidden_block_count_z
      - .offset:         100
        .size:           2
        .value_kind:     hidden_group_size_x
      - .offset:         102
        .size:           2
        .value_kind:     hidden_group_size_y
      - .offset:         104
        .size:           2
        .value_kind:     hidden_group_size_z
      - .offset:         106
        .size:           2
        .value_kind:     hidden_remainder_x
      - .offset:         108
        .size:           2
        .value_kind:     hidden_remainder_y
      - .offset:         110
        .size:           2
        .value_kind:     hidden_remainder_z
      - .offset:         128
        .size:           8
        .value_kind:     hidden_global_offset_x
      - .offset:         136
        .size:           8
        .value_kind:     hidden_global_offset_y
      - .offset:         144
        .size:           8
        .value_kind:     hidden_global_offset_z
      - .offset:         152
        .size:           2
        .value_kind:     hidden_grid_dims
    .group_segment_fixed_size: 36868
    .kernarg_segment_align: 8
    .kernarg_segment_size: 344
    .language:       OpenCL C
    .language_version:
      - 2
      - 0
    .max_flat_workgroup_size: 256
    .name:           _ZN6thrust23THRUST_200600_302600_NS11hip_rocprim16__set_operations22lookback_set_op_kernelIN7rocprim17ROCPRIM_400000_NS13kernel_configILj256ELj16ELj4294967295EEELb0ENS0_6detail15normal_iteratorINS0_10device_ptrIKiEEEESD_PiSE_lNS9_INSA_IiEEEESE_NS0_4lessIiEENS2_23serial_set_intersectionENS5_6detail19lookback_scan_stateIlLb0ELb1EEEEEvT1_T2_T3_T4_T6_T7_T8_T9_PNS0_4pairIT5_SW_EEPSW_T10_NSK_16ordered_block_idIjEE
    .private_segment_fixed_size: 0
    .sgpr_count:     46
    .sgpr_spill_count: 0
    .symbol:         _ZN6thrust23THRUST_200600_302600_NS11hip_rocprim16__set_operations22lookback_set_op_kernelIN7rocprim17ROCPRIM_400000_NS13kernel_configILj256ELj16ELj4294967295EEELb0ENS0_6detail15normal_iteratorINS0_10device_ptrIKiEEEESD_PiSE_lNS9_INSA_IiEEEESE_NS0_4lessIiEENS2_23serial_set_intersectionENS5_6detail19lookback_scan_stateIlLb0ELb1EEEEEvT1_T2_T3_T4_T6_T7_T8_T9_PNS0_4pairIT5_SW_EEPSW_T10_NSK_16ordered_block_idIjEE.kd
    .uniform_work_group_size: 1
    .uses_dynamic_stack: false
    .vgpr_count:     75
    .vgpr_spill_count: 0
    .wavefront_size: 32
  - .args:
      - .offset:         0
        .size:           48
        .value_kind:     by_value
      - .offset:         48
        .size:           4
        .value_kind:     by_value
      - .offset:         52
        .size:           4
        .value_kind:     by_value
    .group_segment_fixed_size: 0
    .kernarg_segment_align: 8
    .kernarg_segment_size: 56
    .language:       OpenCL C
    .language_version:
      - 2
      - 0
    .max_flat_workgroup_size: 256
    .name:           _ZN6thrust23THRUST_200600_302600_NS11hip_rocprim14__parallel_for6kernelILj256EZNS1_16__set_operations9doit_stepILb0ENS0_6detail15normal_iteratorINS0_10device_ptrIKiEEEESB_PiSC_lNS7_INS8_IiEEEESC_NS0_4lessIiEENS4_21serial_set_differenceEEE10hipError_tPvRmT0_T1_T2_T3_T4_SP_T5_T6_PSP_T7_T8_P12ihipStream_tbEUllE_jLj1EEEvSL_SM_SM_
    .private_segment_fixed_size: 0
    .sgpr_count:     18
    .sgpr_spill_count: 0
    .symbol:         _ZN6thrust23THRUST_200600_302600_NS11hip_rocprim14__parallel_for6kernelILj256EZNS1_16__set_operations9doit_stepILb0ENS0_6detail15normal_iteratorINS0_10device_ptrIKiEEEESB_PiSC_lNS7_INS8_IiEEEESC_NS0_4lessIiEENS4_21serial_set_differenceEEE10hipError_tPvRmT0_T1_T2_T3_T4_SP_T5_T6_PSP_T7_T8_P12ihipStream_tbEUllE_jLj1EEEvSL_SM_SM_.kd
    .uniform_work_group_size: 1
    .uses_dynamic_stack: false
    .vgpr_count:     25
    .vgpr_spill_count: 0
    .wavefront_size: 32
  - .args:
      - .address_space:  global
        .offset:         0
        .size:           8
        .value_kind:     global_buffer
      - .address_space:  global
        .offset:         8
        .size:           8
        .value_kind:     global_buffer
      - .address_space:  global
        .offset:         16
        .size:           8
        .value_kind:     global_buffer
      - .address_space:  global
        .offset:         24
        .size:           8
        .value_kind:     global_buffer
      - .address_space:  global
        .offset:         32
        .size:           8
        .value_kind:     global_buffer
      - .address_space:  global
        .offset:         40
        .size:           8
        .value_kind:     global_buffer
      - .offset:         48
        .size:           1
        .value_kind:     by_value
      - .offset:         49
        .size:           1
        .value_kind:     by_value
      - .address_space:  global
        .offset:         56
        .size:           8
        .value_kind:     global_buffer
      - .address_space:  global
        .offset:         64
        .size:           8
        .value_kind:     global_buffer
      - .address_space:  global
        .offset:         72
        .size:           8
        .value_kind:     global_buffer
      - .address_space:  global
        .offset:         80
        .size:           8
        .value_kind:     global_buffer
      - .offset:         88
        .size:           4
        .value_kind:     hidden_block_count_x
      - .offset:         92
        .size:           4
        .value_kind:     hidden_block_count_y
      - .offset:         96
        .size:           4
        .value_kind:     hidden_block_count_z
      - .offset:         100
        .size:           2
        .value_kind:     hidden_group_size_x
      - .offset:         102
        .size:           2
        .value_kind:     hidden_group_size_y
      - .offset:         104
        .size:           2
        .value_kind:     hidden_group_size_z
      - .offset:         106
        .size:           2
        .value_kind:     hidden_remainder_x
      - .offset:         108
        .size:           2
        .value_kind:     hidden_remainder_y
      - .offset:         110
        .size:           2
        .value_kind:     hidden_remainder_z
      - .offset:         128
        .size:           8
        .value_kind:     hidden_global_offset_x
      - .offset:         136
        .size:           8
        .value_kind:     hidden_global_offset_y
      - .offset:         144
        .size:           8
        .value_kind:     hidden_global_offset_z
      - .offset:         152
        .size:           2
        .value_kind:     hidden_grid_dims
    .group_segment_fixed_size: 36868
    .kernarg_segment_align: 8
    .kernarg_segment_size: 344
    .language:       OpenCL C
    .language_version:
      - 2
      - 0
    .max_flat_workgroup_size: 256
    .name:           _ZN6thrust23THRUST_200600_302600_NS11hip_rocprim16__set_operations22lookback_set_op_kernelIN7rocprim17ROCPRIM_400000_NS13kernel_configILj256ELj16ELj4294967295EEELb0ENS0_6detail15normal_iteratorINS0_10device_ptrIKiEEEESD_PiSE_lNS9_INSA_IiEEEESE_NS0_4lessIiEENS2_21serial_set_differenceENS5_6detail19lookback_scan_stateIlLb0ELb1EEEEEvT1_T2_T3_T4_T6_T7_T8_T9_PNS0_4pairIT5_SW_EEPSW_T10_NSK_16ordered_block_idIjEE
    .private_segment_fixed_size: 0
    .sgpr_count:     41
    .sgpr_spill_count: 0
    .symbol:         _ZN6thrust23THRUST_200600_302600_NS11hip_rocprim16__set_operations22lookback_set_op_kernelIN7rocprim17ROCPRIM_400000_NS13kernel_configILj256ELj16ELj4294967295EEELb0ENS0_6detail15normal_iteratorINS0_10device_ptrIKiEEEESD_PiSE_lNS9_INSA_IiEEEESE_NS0_4lessIiEENS2_21serial_set_differenceENS5_6detail19lookback_scan_stateIlLb0ELb1EEEEEvT1_T2_T3_T4_T6_T7_T8_T9_PNS0_4pairIT5_SW_EEPSW_T10_NSK_16ordered_block_idIjEE.kd
    .uniform_work_group_size: 1
    .uses_dynamic_stack: false
    .vgpr_count:     61
    .vgpr_spill_count: 0
    .wavefront_size: 32
  - .args:
      - .offset:         0
        .size:           48
        .value_kind:     by_value
      - .offset:         48
        .size:           4
        .value_kind:     by_value
      - .offset:         52
        .size:           4
        .value_kind:     by_value
    .group_segment_fixed_size: 0
    .kernarg_segment_align: 8
    .kernarg_segment_size: 56
    .language:       OpenCL C
    .language_version:
      - 2
      - 0
    .max_flat_workgroup_size: 256
    .name:           _ZN6thrust23THRUST_200600_302600_NS11hip_rocprim14__parallel_for6kernelILj256EZNS1_16__set_operations9doit_stepILb0ENS0_6detail15normal_iteratorINS0_10device_ptrIKiEEEESB_PiSC_lNS7_INS8_IiEEEESC_NS0_4lessIiEENS4_31serial_set_symmetric_differenceEEE10hipError_tPvRmT0_T1_T2_T3_T4_SP_T5_T6_PSP_T7_T8_P12ihipStream_tbEUllE_jLj1EEEvSL_SM_SM_
    .private_segment_fixed_size: 0
    .sgpr_count:     18
    .sgpr_spill_count: 0
    .symbol:         _ZN6thrust23THRUST_200600_302600_NS11hip_rocprim14__parallel_for6kernelILj256EZNS1_16__set_operations9doit_stepILb0ENS0_6detail15normal_iteratorINS0_10device_ptrIKiEEEESB_PiSC_lNS7_INS8_IiEEEESC_NS0_4lessIiEENS4_31serial_set_symmetric_differenceEEE10hipError_tPvRmT0_T1_T2_T3_T4_SP_T5_T6_PSP_T7_T8_P12ihipStream_tbEUllE_jLj1EEEvSL_SM_SM_.kd
    .uniform_work_group_size: 1
    .uses_dynamic_stack: false
    .vgpr_count:     25
    .vgpr_spill_count: 0
    .wavefront_size: 32
  - .args:
      - .address_space:  global
        .offset:         0
        .size:           8
        .value_kind:     global_buffer
      - .address_space:  global
        .offset:         8
        .size:           8
        .value_kind:     global_buffer
      - .address_space:  global
        .offset:         16
        .size:           8
        .value_kind:     global_buffer
      - .address_space:  global
        .offset:         24
        .size:           8
        .value_kind:     global_buffer
      - .address_space:  global
        .offset:         32
        .size:           8
        .value_kind:     global_buffer
      - .address_space:  global
        .offset:         40
        .size:           8
        .value_kind:     global_buffer
      - .offset:         48
        .size:           1
        .value_kind:     by_value
      - .offset:         49
        .size:           1
        .value_kind:     by_value
      - .address_space:  global
        .offset:         56
        .size:           8
        .value_kind:     global_buffer
      - .address_space:  global
        .offset:         64
        .size:           8
        .value_kind:     global_buffer
      - .address_space:  global
        .offset:         72
        .size:           8
        .value_kind:     global_buffer
      - .address_space:  global
        .offset:         80
        .size:           8
        .value_kind:     global_buffer
      - .offset:         88
        .size:           4
        .value_kind:     hidden_block_count_x
      - .offset:         92
        .size:           4
        .value_kind:     hidden_block_count_y
      - .offset:         96
        .size:           4
        .value_kind:     hidden_block_count_z
      - .offset:         100
        .size:           2
        .value_kind:     hidden_group_size_x
      - .offset:         102
        .size:           2
        .value_kind:     hidden_group_size_y
      - .offset:         104
        .size:           2
        .value_kind:     hidden_group_size_z
      - .offset:         106
        .size:           2
        .value_kind:     hidden_remainder_x
      - .offset:         108
        .size:           2
        .value_kind:     hidden_remainder_y
      - .offset:         110
        .size:           2
        .value_kind:     hidden_remainder_z
      - .offset:         128
        .size:           8
        .value_kind:     hidden_global_offset_x
      - .offset:         136
        .size:           8
        .value_kind:     hidden_global_offset_y
      - .offset:         144
        .size:           8
        .value_kind:     hidden_global_offset_z
      - .offset:         152
        .size:           2
        .value_kind:     hidden_grid_dims
    .group_segment_fixed_size: 36868
    .kernarg_segment_align: 8
    .kernarg_segment_size: 344
    .language:       OpenCL C
    .language_version:
      - 2
      - 0
    .max_flat_workgroup_size: 256
    .name:           _ZN6thrust23THRUST_200600_302600_NS11hip_rocprim16__set_operations22lookback_set_op_kernelIN7rocprim17ROCPRIM_400000_NS13kernel_configILj256ELj16ELj4294967295EEELb0ENS0_6detail15normal_iteratorINS0_10device_ptrIKiEEEESD_PiSE_lNS9_INSA_IiEEEESE_NS0_4lessIiEENS2_31serial_set_symmetric_differenceENS5_6detail19lookback_scan_stateIlLb0ELb1EEEEEvT1_T2_T3_T4_T6_T7_T8_T9_PNS0_4pairIT5_SW_EEPSW_T10_NSK_16ordered_block_idIjEE
    .private_segment_fixed_size: 0
    .sgpr_count:     60
    .sgpr_spill_count: 0
    .symbol:         _ZN6thrust23THRUST_200600_302600_NS11hip_rocprim16__set_operations22lookback_set_op_kernelIN7rocprim17ROCPRIM_400000_NS13kernel_configILj256ELj16ELj4294967295EEELb0ENS0_6detail15normal_iteratorINS0_10device_ptrIKiEEEESD_PiSE_lNS9_INSA_IiEEEESE_NS0_4lessIiEENS2_31serial_set_symmetric_differenceENS5_6detail19lookback_scan_stateIlLb0ELb1EEEEEvT1_T2_T3_T4_T6_T7_T8_T9_PNS0_4pairIT5_SW_EEPSW_T10_NSK_16ordered_block_idIjEE.kd
    .uniform_work_group_size: 1
    .uses_dynamic_stack: false
    .vgpr_count:     77
    .vgpr_spill_count: 0
    .wavefront_size: 32
  - .args:
      - .offset:         0
        .size:           48
        .value_kind:     by_value
      - .offset:         48
        .size:           4
        .value_kind:     by_value
      - .offset:         52
        .size:           4
        .value_kind:     by_value
    .group_segment_fixed_size: 0
    .kernarg_segment_align: 8
    .kernarg_segment_size: 56
    .language:       OpenCL C
    .language_version:
      - 2
      - 0
    .max_flat_workgroup_size: 256
    .name:           _ZN6thrust23THRUST_200600_302600_NS11hip_rocprim14__parallel_for6kernelILj256EZNS1_16__set_operations9doit_stepILb0ENS0_6detail15normal_iteratorINS0_10device_ptrIKiEEEESB_PiSC_lNS0_16discard_iteratorINS0_11use_defaultEEESC_NS0_4lessIiEENS4_23serial_set_intersectionEEE10hipError_tPvRmT0_T1_T2_T3_T4_SQ_T5_T6_PSQ_T7_T8_P12ihipStream_tbEUllE_jLj1EEEvSM_SN_SN_
    .private_segment_fixed_size: 0
    .sgpr_count:     18
    .sgpr_spill_count: 0
    .symbol:         _ZN6thrust23THRUST_200600_302600_NS11hip_rocprim14__parallel_for6kernelILj256EZNS1_16__set_operations9doit_stepILb0ENS0_6detail15normal_iteratorINS0_10device_ptrIKiEEEESB_PiSC_lNS0_16discard_iteratorINS0_11use_defaultEEESC_NS0_4lessIiEENS4_23serial_set_intersectionEEE10hipError_tPvRmT0_T1_T2_T3_T4_SQ_T5_T6_PSQ_T7_T8_P12ihipStream_tbEUllE_jLj1EEEvSM_SN_SN_.kd
    .uniform_work_group_size: 1
    .uses_dynamic_stack: false
    .vgpr_count:     25
    .vgpr_spill_count: 0
    .wavefront_size: 32
  - .args:
      - .address_space:  global
        .offset:         0
        .size:           8
        .value_kind:     global_buffer
      - .address_space:  global
        .offset:         8
        .size:           8
        .value_kind:     global_buffer
      - .address_space:  global
        .offset:         16
        .size:           8
        .value_kind:     global_buffer
      - .address_space:  global
        .offset:         24
        .size:           8
        .value_kind:     global_buffer
      - .offset:         32
        .size:           16
        .value_kind:     by_value
      - .address_space:  global
        .offset:         48
        .size:           8
        .value_kind:     global_buffer
      - .offset:         56
        .size:           1
        .value_kind:     by_value
      - .offset:         57
        .size:           1
        .value_kind:     by_value
      - .address_space:  global
        .offset:         64
        .size:           8
        .value_kind:     global_buffer
      - .address_space:  global
        .offset:         72
        .size:           8
        .value_kind:     global_buffer
      - .address_space:  global
        .offset:         80
        .size:           8
        .value_kind:     global_buffer
      - .address_space:  global
        .offset:         88
        .size:           8
        .value_kind:     global_buffer
      - .offset:         96
        .size:           4
        .value_kind:     hidden_block_count_x
      - .offset:         100
        .size:           4
        .value_kind:     hidden_block_count_y
      - .offset:         104
        .size:           4
        .value_kind:     hidden_block_count_z
      - .offset:         108
        .size:           2
        .value_kind:     hidden_group_size_x
      - .offset:         110
        .size:           2
        .value_kind:     hidden_group_size_y
      - .offset:         112
        .size:           2
        .value_kind:     hidden_group_size_z
      - .offset:         114
        .size:           2
        .value_kind:     hidden_remainder_x
      - .offset:         116
        .size:           2
        .value_kind:     hidden_remainder_y
      - .offset:         118
        .size:           2
        .value_kind:     hidden_remainder_z
      - .offset:         136
        .size:           8
        .value_kind:     hidden_global_offset_x
      - .offset:         144
        .size:           8
        .value_kind:     hidden_global_offset_y
      - .offset:         152
        .size:           8
        .value_kind:     hidden_global_offset_z
      - .offset:         160
        .size:           2
        .value_kind:     hidden_grid_dims
    .group_segment_fixed_size: 36868
    .kernarg_segment_align: 8
    .kernarg_segment_size: 352
    .language:       OpenCL C
    .language_version:
      - 2
      - 0
    .max_flat_workgroup_size: 256
    .name:           _ZN6thrust23THRUST_200600_302600_NS11hip_rocprim16__set_operations22lookback_set_op_kernelIN7rocprim17ROCPRIM_400000_NS13kernel_configILj256ELj16ELj4294967295EEELb0ENS0_6detail15normal_iteratorINS0_10device_ptrIKiEEEESD_PiSE_lNS0_16discard_iteratorINS0_11use_defaultEEESE_NS0_4lessIiEENS2_23serial_set_intersectionENS5_6detail19lookback_scan_stateIlLb0ELb1EEEEEvT1_T2_T3_T4_T6_T7_T8_T9_PNS0_4pairIT5_SX_EEPSX_T10_NSL_16ordered_block_idIjEE
    .private_segment_fixed_size: 0
    .sgpr_count:     44
    .sgpr_spill_count: 0
    .symbol:         _ZN6thrust23THRUST_200600_302600_NS11hip_rocprim16__set_operations22lookback_set_op_kernelIN7rocprim17ROCPRIM_400000_NS13kernel_configILj256ELj16ELj4294967295EEELb0ENS0_6detail15normal_iteratorINS0_10device_ptrIKiEEEESD_PiSE_lNS0_16discard_iteratorINS0_11use_defaultEEESE_NS0_4lessIiEENS2_23serial_set_intersectionENS5_6detail19lookback_scan_stateIlLb0ELb1EEEEEvT1_T2_T3_T4_T6_T7_T8_T9_PNS0_4pairIT5_SX_EEPSX_T10_NSL_16ordered_block_idIjEE.kd
    .uniform_work_group_size: 1
    .uses_dynamic_stack: false
    .vgpr_count:     74
    .vgpr_spill_count: 0
    .wavefront_size: 32
amdhsa.target:   amdgcn-amd-amdhsa--gfx1250
amdhsa.version:
  - 1
  - 2
...

	.end_amdgpu_metadata
